;; amdgpu-corpus repo=zjin-lcf/HeCBench kind=compiled arch=gfx1250 opt=O3
	.amdgcn_target "amdgcn-amd-amdhsa--gfx1250"
	.amdhsa_code_object_version 6
	.text
	.protected	_Z17kernel_initializeP15HIP_vector_typeIsLj2EEPsPKtiPS_IfLj2EEPKf14ConstMemParams ; -- Begin function _Z17kernel_initializeP15HIP_vector_typeIsLj2EEPsPKtiPS_IfLj2EEPKf14ConstMemParams
	.globl	_Z17kernel_initializeP15HIP_vector_typeIsLj2EEPsPKtiPS_IfLj2EEPKf14ConstMemParams
	.p2align	8
	.type	_Z17kernel_initializeP15HIP_vector_typeIsLj2EEPsPKtiPS_IfLj2EEPKf14ConstMemParams,@function
_Z17kernel_initializeP15HIP_vector_typeIsLj2EEPsPKtiPS_IfLj2EEPKf14ConstMemParams: ; @_Z17kernel_initializeP15HIP_vector_typeIsLj2EEPsPKtiPS_IfLj2EEPKf14ConstMemParams
; %bb.0:
	s_load_b32 s2, s[0:1], 0x7c4
	s_bfe_u32 s3, ttmp6, 0x4000c
	s_and_b32 s4, ttmp6, 15
	s_add_co_i32 s3, s3, 1
	s_getreg_b32 s5, hwreg(HW_REG_IB_STS2, 6, 4)
	s_mul_i32 s3, ttmp9, s3
	s_clause 0x1
	s_load_b32 s6, s[0:1], 0x790
	s_load_b128 s[28:31], s[0:1], 0x0
	s_add_co_i32 s4, s4, s3
	s_add_nc_u64 s[26:27], s[0:1], 48
	s_wait_kmcnt 0x0
	s_and_b32 s2, s2, 0xffff
	s_cmp_eq_u32 s5, 0
	s_cselect_b32 s3, ttmp9, s4
	s_delay_alu instid0(SALU_CYCLE_1) | instskip(SKIP_1) | instid1(VALU_DEP_1)
	v_mad_u32 v127, s3, s2, v0
	s_load_b32 s2, s[0:1], 0x764
	v_and_b32_e32 v10, 0xffffffe0, v127
	s_delay_alu instid0(VALU_DEP_1)
	v_cmp_gt_i32_e32 vcc_lo, s6, v10
	s_load_b96 s[4:6], s[0:1], 0x10
	v_cndmask_b32_e64 v1, 15, 5, vcc_lo
	v_cndmask_b32_e64 v0, 11, 0, vcc_lo
	;; [unrolled: 1-line block ×3, first 2 shown]
	s_wait_kmcnt 0x0
	s_cmp_lt_i32 s2, 2
	global_load_b32 v2, v1, s[26:27] offset:1848 scale_offset
	s_wait_loadcnt 0x0
	v_cmp_gt_i32_e32 vcc_lo, v2, v10
	v_dual_cndmask_b32 v1, v3, v1 :: v_dual_add_nc_u32 v4, 1, v1
	s_delay_alu instid0(VALU_DEP_1) | instskip(NEXT) | instid1(VALU_DEP_1)
	v_cndmask_b32_e32 v0, v4, v0, vcc_lo
	v_add_nc_u16 v2, v0, v1
	s_delay_alu instid0(VALU_DEP_1) | instskip(NEXT) | instid1(VALU_DEP_1)
	v_lshrrev_b16 v2, 1, v2
	v_and_b32_e32 v2, 0xffff, v2
	global_load_b32 v3, v2, s[26:27] offset:1848 scale_offset
	v_add_nc_u32_e32 v4, 1, v2
	s_wait_loadcnt 0x0
	v_cmp_gt_i32_e32 vcc_lo, v3, v10
	s_delay_alu instid0(VALU_DEP_2) | instskip(SKIP_1) | instid1(VALU_DEP_2)
	v_dual_cndmask_b32 v0, v4, v0 :: v_dual_cndmask_b32 v1, v1, v2
	v_lshl_add_u32 v4, s6, 14, v127
	v_add_nc_u32_e32 v2, v0, v1
	global_load_u16 v11, v4, s[4:5] scale_offset
	s_wait_xcnt 0x0
	s_load_b128 s[4:7], s[0:1], 0x20
	v_lshrrev_b32_e32 v2, 1, v2
	global_load_b32 v3, v2, s[26:27] offset:1848 scale_offset
	s_wait_loadcnt 0x0
	v_cmp_gt_i32_e32 vcc_lo, v3, v10
	v_dual_mov_b32 v3, 0 :: v_dual_add_nc_u32 v4, 1, v2
	s_delay_alu instid0(VALU_DEP_1) | instskip(NEXT) | instid1(VALU_DEP_2)
	v_dual_cndmask_b32 v4, v4, v0, vcc_lo :: v_dual_cndmask_b32 v2, v1, v2, vcc_lo
	v_mov_b32_e32 v5, v3
	s_delay_alu instid0(VALU_DEP_1) | instskip(NEXT) | instid1(VALU_DEP_1)
	v_add_nc_u64_e32 v[6:7], v[4:5], v[2:3]
	v_lshrrev_b64 v[0:1], 1, v[6:7]
	v_alignbit_b32 v5, v7, v6, 1
	s_delay_alu instid0(VALU_DEP_2)
	v_lshl_add_u64 v[8:9], v[0:1], 2, s[26:27]
	global_load_b32 v3, v[8:9], off offset:1848
	s_wait_kmcnt 0x0
	global_load_b64 v[0:1], v11, s[4:5] scale_offset
	s_wait_loadcnt 0x1
	v_cmp_gt_i32_e32 vcc_lo, v3, v10
	v_dual_add_nc_u32 v6, 1, v5 :: v_dual_cndmask_b32 v2, v2, v5, vcc_lo
	s_delay_alu instid0(VALU_DEP_1) | instskip(NEXT) | instid1(VALU_DEP_1)
	v_cndmask_b32_e32 v3, v6, v4, vcc_lo
	v_add_nc_u32_e32 v2, v3, v2
	s_cbranch_scc1 .LBB0_9
; %bb.1:
	s_wait_loadcnt 0x0
	v_mov_b64_e32 v[14:15], v[0:1]
	s_cmp_eq_u32 s2, 2
	s_cbranch_scc0 .LBB0_10
; %bb.2:
	v_lshrrev_b32_e32 v3, 1, v2
	v_pk_mul_f32 v[14:15], v[0:1], 0.5 op_sel_hi:[1,0]
	s_mov_b32 s0, exec_lo
	s_delay_alu instid0(VALU_DEP_2) | instskip(NEXT) | instid1(VALU_DEP_1)
	v_mul_lo_u16 v4, 0xab, v3
	v_lshrrev_b16 v4, 9, v4
	s_delay_alu instid0(VALU_DEP_1) | instskip(NEXT) | instid1(VALU_DEP_1)
	v_mul_lo_u16 v4, v4, 3
	v_sub_nc_u16 v3, v3, v4
	s_delay_alu instid0(VALU_DEP_1) | instskip(NEXT) | instid1(VALU_DEP_1)
	v_and_b32_e32 v3, 0xff, v3
	v_cmpx_lt_i16_e32 1, v3
	s_xor_b32 s0, exec_lo, s0
; %bb.3:
	v_add_f32_e32 v15, 0.5, v15
                                        ; implicit-def: $vgpr3
; %bb.4:
	s_and_not1_saveexec_b32 s0, s0
	s_cbranch_execz .LBB0_8
; %bb.5:
	s_mov_b32 s1, exec_lo
	v_cmpx_eq_u16_e32 1, v3
; %bb.6:
	v_add_f32_e32 v14, 0.5, v14
; %bb.7:
	s_or_b32 exec_lo, exec_lo, s1
.LBB0_8:
	s_delay_alu instid0(SALU_CYCLE_1)
	s_or_b32 exec_lo, exec_lo, s0
	s_cbranch_execz .LBB0_11
	s_branch .LBB0_20
.LBB0_9:
                                        ; implicit-def: $vgpr14_vgpr15
	s_branch .LBB0_11
.LBB0_10:
	s_cbranch_execnz .LBB0_20
.LBB0_11:
	s_cmp_lg_u32 s2, 1
	s_cbranch_scc1 .LBB0_19
; %bb.12:
	v_mul_hi_i32 v3, 0x55555556, v127
	s_wait_loadcnt 0x0
	v_pk_mul_f32 v[0:1], v[0:1], 0.5 op_sel_hi:[1,0]
	s_mov_b32 s0, exec_lo
	s_delay_alu instid0(VALU_DEP_2) | instskip(NEXT) | instid1(VALU_DEP_1)
	v_lshrrev_b32_e32 v4, 31, v3
	v_add_nc_u32_e32 v3, v3, v4
	s_delay_alu instid0(VALU_DEP_1) | instskip(NEXT) | instid1(VALU_DEP_1)
	v_lshl_add_u32 v3, v3, 1, v3
	v_sub_nc_u32_e32 v3, v127, v3
	s_delay_alu instid0(VALU_DEP_1)
	v_cmpx_lt_i32_e32 1, v3
	s_xor_b32 s0, exec_lo, s0
; %bb.13:
	v_add_f32_e32 v1, 0.5, v1
                                        ; implicit-def: $vgpr3
; %bb.14:
	s_and_not1_saveexec_b32 s0, s0
	s_cbranch_execz .LBB0_18
; %bb.15:
	s_mov_b32 s1, exec_lo
	v_cmpx_eq_u32_e32 1, v3
; %bb.16:
	v_add_f32_e32 v0, 0.5, v0
; %bb.17:
	s_or_b32 exec_lo, exec_lo, s1
.LBB0_18:
	s_delay_alu instid0(SALU_CYCLE_1)
	s_or_b32 exec_lo, exec_lo, s0
.LBB0_19:
	s_wait_loadcnt 0x0
	s_delay_alu instid0(VALU_DEP_1)
	v_mov_b64_e32 v[14:15], v[0:1]
.LBB0_20:
	v_dual_mov_b32 v75, 0 :: v_dual_lshrrev_b32 v4, 1, v2
	s_mov_b32 s33, 0x7fffff
	s_mov_b64 s[34:35], 0xfe5163ab
	s_mov_b32 s36, 0xb94c1982
	s_delay_alu instid0(VALU_DEP_1)
	v_mad_nc_u64_u32 v[8:9], v4, 24, s[26:27]
	v_dual_mov_b32 v5, v75 :: v_dual_mov_b32 v27, v75
	s_mov_b32 s38, 0x37d75334
	s_mov_b32 s40, 0xbc8cedd3
	;; [unrolled: 1-line block ×8, first 2 shown]
	global_load_b64 v[40:41], v[8:9], off offset:896
	s_wait_loadcnt 0x1
	global_load_b128 v[0:3], v[8:9], off offset:880
	s_load_b32 s0, s[26:27], 0x730
	scratch_store_b64 off, v[4:5], off      ; 8-byte Folded Spill
	v_lshl_add_u64 v[8:9], v[4:5], 4, v[8:9]
	s_wait_xcnt 0x0
	v_and_b32_e32 v4, 0x3fffff, v127
	s_mov_b32 s52, 0x3d2aabf7
	s_mov_b32 s56, 0x3c0881c4
	;; [unrolled: 1-line block ×4, first 2 shown]
	v_dual_mov_b32 v25, v75 :: v_dual_lshlrev_b32 v74, 2, v4
	v_dual_mov_b32 v29, v75 :: v_dual_mov_b32 v35, v75
	v_mov_b32_e32 v37, v75
	s_delay_alu instid0(VALU_DEP_3)
	v_add_nc_u64_e32 v[4:5], s[6:7], v[74:75]
	v_dual_mov_b32 v47, v75 :: v_dual_mov_b32 v49, v75
	v_dual_mov_b32 v53, v75 :: v_dual_mov_b32 v59, 1.0
	v_dual_mov_b32 v57, v75 :: v_dual_mov_b32 v69, v75
	scratch_store_b64 off, v[4:5], off offset:8 ; 8-byte Folded Spill
	s_wait_kmcnt 0x0
	v_lshl_add_u32 v4, s0, 7, v127
	v_dual_mov_b32 v73, v75 :: v_dual_mov_b32 v77, v75
	v_mov_b32_e32 v79, v75
	s_delay_alu instid0(VALU_DEP_3) | instskip(SKIP_1) | instid1(VALU_DEP_1)
	v_and_b32_e32 v4, 0x3fffff, v4
	s_wait_loadcnt 0x1
	v_dual_mov_b32 v19, v40 :: v_dual_lshlrev_b32 v74, 2, v4
	s_wait_loadcnt 0x0
	v_dual_mov_b32 v42, v41 :: v_dual_mov_b32 v17, v1
	v_dual_mov_b32 v18, v0 :: v_dual_mov_b32 v16, v3
	v_mov_b32_e32 v43, v2
	v_add_nc_u64_e32 v[4:5], s[6:7], v[74:75]
	s_delay_alu instid0(VALU_DEP_3) | instskip(NEXT) | instid1(VALU_DEP_1)
	v_pk_mul_f32 v[18:19], v[14:15], v[18:19]
	v_pk_fma_f32 v[14:15], v[14:15], v[16:17], v[18:19] op_sel:[0,0,1] op_sel_hi:[1,1,0]
	scratch_store_b64 off, v[4:5], off offset:16 ; 8-byte Folded Spill
	v_pk_add_f32 v[14:15], v[42:43], v[14:15]
	s_delay_alu instid0(VALU_DEP_1)
	v_pk_mul_f32 v[20:21], v[14:15], v[14:15]
	v_and_b32_e32 v39, 0x7fffffff, v15
	v_and_b32_e32 v32, 0x7fffffff, v14
	v_cmp_gt_f32_e64 s15, 0x48000000, |v14|
	v_cmp_class_f32_e64 s5, v15, 0x204
	v_mov_b32_e32 v0, v21
	v_and_or_b32 v74, v39, s33, 0x800000
	v_mul_f32_e32 v106, 0x40490fdb, v15
	v_mul_f32_e32 v116, 0x40490fdb, v14
	v_cmp_class_f32_e64 s16, v14, 0x1f8
	v_pk_fma_f32 v[18:19], v[14:15], v[14:15], v[0:1]
	v_mul_u64_e32 v[22:23], s[34:35], v[74:75]
	v_cmp_class_f32_e64 s17, v15, 0x1f8
	s_delay_alu instid0(VALU_DEP_3) | instskip(SKIP_1) | instid1(VALU_DEP_1)
	v_cmp_gt_f32_e32 vcc_lo, 0xf800000, v18
	v_mul_f32_e32 v0, 0x4f800000, v18
	v_cndmask_b32_e32 v0, v18, v0, vcc_lo
	s_delay_alu instid0(VALU_DEP_1) | instskip(SKIP_2) | instid1(TRANS32_DEP_1)
	v_sqrt_f32_e32 v3, v0
	s_wait_xcnt 0x0
	v_nop
	v_add_nc_u32_e32 v4, -1, v3
	s_delay_alu instid0(VALU_DEP_1) | instskip(NEXT) | instid1(VALU_DEP_1)
	v_fma_f32 v5, -v4, v3, v0
	v_cmp_ge_f32_e64 s0, 0, v5
	v_dual_mov_b32 v24, v23 :: v_dual_add_nc_u32 v5, 1, v3
	s_delay_alu instid0(VALU_DEP_1) | instskip(NEXT) | instid1(VALU_DEP_2)
	v_dual_cndmask_b32 v4, v3, v4, s0 :: v_dual_fma_f32 v3, -v5, v3, v0
	v_mad_nc_u64_u32 v[24:25], 0x3c439041, v74, v[24:25]
	s_delay_alu instid0(VALU_DEP_2) | instskip(NEXT) | instid1(VALU_DEP_1)
	v_cmp_lt_f32_e64 s0, 0, v3
	v_cndmask_b32_e64 v3, v4, v5, s0
	s_mov_b32 s0, 0x3b2d2a58
	s_delay_alu instid0(VALU_DEP_3) | instskip(NEXT) | instid1(VALU_DEP_2)
	v_dual_mov_b32 v26, v25 :: v_dual_mov_b32 v25, v75
	v_mul_f32_e32 v4, 0x37800000, v3
	s_delay_alu instid0(VALU_DEP_2) | instskip(NEXT) | instid1(VALU_DEP_2)
	v_mad_nc_u64_u32 v[26:27], 0xdb629599, v74, v[26:27]
	v_cndmask_b32_e32 v3, v3, v4, vcc_lo
	v_cmp_class_f32_e64 vcc_lo, v0, 0x260
	s_delay_alu instid0(VALU_DEP_2) | instskip(NEXT) | instid1(VALU_DEP_4)
	v_cndmask_b32_e32 v16, v3, v0, vcc_lo
	v_dual_mov_b32 v28, v27 :: v_dual_mov_b32 v27, v75
	s_delay_alu instid0(VALU_DEP_2) | instskip(NEXT) | instid1(VALU_DEP_2)
	v_div_scale_f32 v0, null, v16, v16, 1.0
	v_mad_nc_u64_u32 v[28:29], 0xf534ddc0, v74, v[28:29]
	s_delay_alu instid0(VALU_DEP_2) | instskip(SKIP_1) | instid1(TRANS32_DEP_1)
	v_rcp_f32_e32 v3, v0
	v_nop
	v_fma_f32 v4, -v0, v3, 1.0
	s_delay_alu instid0(VALU_DEP_3) | instskip(NEXT) | instid1(VALU_DEP_2)
	v_dual_mov_b32 v34, v29 :: v_dual_mov_b32 v29, v75
	v_fmac_f32_e32 v3, v4, v3
	v_div_scale_f32 v4, vcc_lo, 1.0, v16, 1.0
	s_delay_alu instid0(VALU_DEP_3) | instskip(SKIP_1) | instid1(VALU_DEP_3)
	v_mad_nc_u64_u32 v[34:35], 0xfc2757d1, v74, v[34:35]
	v_cmp_class_f32_e64 s6, v16, 0x1f8
	v_mul_f32_e32 v5, v4, v3
	s_delay_alu instid0(VALU_DEP_1) | instskip(NEXT) | instid1(VALU_DEP_1)
	v_dual_fma_f32 v6, -v0, v5, v4 :: v_dual_mov_b32 v36, v35
	v_dual_mov_b32 v35, v75 :: v_dual_fmac_f32 v5, v6, v3
	s_delay_alu instid0(VALU_DEP_2) | instskip(NEXT) | instid1(VALU_DEP_2)
	v_mad_nc_u64_u32 v[36:37], 0x4e441529, v74, v[36:37]
	v_fma_f32 v0, -v0, v5, v4
	s_delay_alu instid0(VALU_DEP_1) | instskip(SKIP_3) | instid1(VALU_DEP_4)
	v_div_fmas_f32 v0, v0, v3, v5
	v_max_num_f32_e64 v3, |v14|, |v15|
	v_cmp_gt_f32_e64 vcc_lo, |v15|, |v14|
	v_mov_b32_e32 v44, v37
	v_div_fixup_f32 v30, v0, v16, 1.0
	s_delay_alu instid0(VALU_DEP_4) | instskip(SKIP_3) | instid1(VALU_DEP_3)
	v_frexp_exp_i32_f32_e32 v4, v3
	v_frexp_mant_f32_e32 v3, v3
	v_min_num_f32_e64 v0, |v14|, |v15|
	v_mov_b32_e32 v37, v75
	v_rcp_f32_e32 v3, v3
	s_delay_alu instid0(VALU_DEP_2)
	v_frexp_exp_i32_f32_e32 v5, v0
	v_frexp_mant_f32_e32 v0, v0
	s_delay_alu instid0(TRANS32_DEP_1) | instid1(VALU_DEP_1)
	v_dual_mul_f32 v0, v0, v3 :: v_dual_sub_nc_u32 v3, v5, v4
	s_delay_alu instid0(VALU_DEP_1) | instskip(NEXT) | instid1(VALU_DEP_1)
	v_ldexp_f32 v0, v0, v3
	v_mul_f32_e32 v3, v0, v0
	s_delay_alu instid0(VALU_DEP_1) | instskip(SKIP_1) | instid1(VALU_DEP_2)
	v_fmaak_f32 v4, s0, v3, 0xbc7a590c
	v_cmp_gt_f32_e64 s0, 0x48000000, |v15|
	v_fmaak_f32 v4, v3, v4, 0x3d29fb3f
	s_delay_alu instid0(VALU_DEP_1) | instskip(NEXT) | instid1(VALU_DEP_1)
	v_fmaak_f32 v4, v3, v4, 0xbd97d4d7
	v_fmaak_f32 v4, v3, v4, 0x3dd931b2
	s_delay_alu instid0(VALU_DEP_1) | instskip(NEXT) | instid1(VALU_DEP_1)
	v_fmaak_f32 v4, v3, v4, 0xbe1160e6
	;; [unrolled: 3-line block ×3, first 2 shown]
	v_mul_f32_e32 v3, v3, v4
	s_delay_alu instid0(VALU_DEP_1) | instskip(NEXT) | instid1(VALU_DEP_1)
	v_fmac_f32_e32 v0, v0, v3
	v_sub_f32_e32 v3, 0x3fc90fdb, v0
	s_delay_alu instid0(VALU_DEP_1) | instskip(SKIP_1) | instid1(VALU_DEP_2)
	v_cndmask_b32_e32 v0, v0, v3, vcc_lo
	v_cmp_gt_f32_e32 vcc_lo, 0, v14
	v_sub_f32_e32 v3, 0x40490fdb, v0
	s_delay_alu instid0(VALU_DEP_1) | instskip(SKIP_1) | instid1(VALU_DEP_1)
	v_cndmask_b32_e32 v0, v0, v3, vcc_lo
	v_lshrrev_b32_e32 v3, 23, v39
	v_add_nc_u32_e32 v3, 0xffffff88, v3
	s_delay_alu instid0(VALU_DEP_1) | instskip(SKIP_1) | instid1(VALU_DEP_2)
	v_cmp_lt_u32_e64 s1, 63, v3
	v_mov_b32_e32 v45, v75
	v_cndmask_b32_e64 v4, 0, 0xffffffc0, s1
	s_delay_alu instid0(VALU_DEP_2) | instskip(SKIP_2) | instid1(VALU_DEP_4)
	v_mad_nc_u64_u32 v[44:45], 0xa2f9836e, v74, v[44:45]
	v_cndmask_b32_e64 v19, v26, v22, s1
	v_and_or_b32 v74, v32, s33, 0x800000
	v_add_nc_u32_e32 v3, v4, v3
	s_delay_alu instid0(VALU_DEP_2) | instskip(NEXT) | instid1(VALU_DEP_2)
	v_mul_u64_e32 v[22:23], s[34:35], v[74:75]
	v_cmp_lt_u32_e64 s2, 31, v3
	v_cndmask_b32_e64 v5, v44, v34, s1
	s_delay_alu instid0(VALU_DEP_2) | instskip(NEXT) | instid1(VALU_DEP_1)
	v_cndmask_b32_e64 v4, 0, 0xffffffe0, s2
	v_add_nc_u32_e32 v3, v4, v3
	s_delay_alu instid0(VALU_DEP_1) | instskip(NEXT) | instid1(VALU_DEP_1)
	v_cmp_lt_u32_e64 s3, 31, v3
	v_cndmask_b32_e64 v4, 0, 0xffffffe0, s3
	s_delay_alu instid0(VALU_DEP_1) | instskip(SKIP_1) | instid1(VALU_DEP_2)
	v_add_nc_u32_e32 v3, v4, v3
	v_cndmask_b32_e64 v4, v36, v28, s1
	v_cmp_eq_u32_e64 s4, 0, v3
	v_cndmask_b32_e64 v7, v45, v36, s1
	s_delay_alu instid0(VALU_DEP_3) | instskip(NEXT) | instid1(VALU_DEP_2)
	v_dual_cndmask_b32 v6, v5, v4, s2 :: v_dual_sub_nc_u32 v3, 32, v3
	v_dual_cndmask_b32 v5, v7, v5, s2 :: v_dual_cndmask_b32 v7, v34, v26, s1
	s_delay_alu instid0(VALU_DEP_1) | instskip(NEXT) | instid1(VALU_DEP_1)
	v_dual_cndmask_b32 v5, v5, v6, s3 :: v_dual_cndmask_b32 v4, v4, v7, s2
	v_cndmask_b32_e64 v6, v6, v4, s3
	s_delay_alu instid0(VALU_DEP_1) | instskip(NEXT) | instid1(VALU_DEP_1)
	v_alignbit_b32 v10, v5, v6, v3
	v_dual_cndmask_b32 v5, v10, v5, s4 :: v_dual_cndmask_b32 v10, v28, v24, s1
	v_mov_b32_e32 v24, v23
	s_delay_alu instid0(VALU_DEP_2) | instskip(NEXT) | instid1(VALU_DEP_3)
	v_bfe_u32 v13, v5, 29, 1
	v_dual_cndmask_b32 v7, v7, v10, s2 :: v_dual_lshrrev_b32 v12, 29, v5
	v_cndmask_b32_e64 v10, v10, v19, s2
	s_delay_alu instid0(VALU_DEP_4) | instskip(NEXT) | instid1(VALU_DEP_3)
	v_mad_nc_u64_u32 v[24:25], 0x3c439041, v74, v[24:25]
	v_dual_sub_nc_u32 v17, 0, v13 :: v_dual_cndmask_b32 v4, v4, v7, s3
	s_delay_alu instid0(VALU_DEP_3) | instskip(NEXT) | instid1(VALU_DEP_2)
	v_cndmask_b32_e64 v7, v7, v10, s3
	v_alignbit_b32 v11, v6, v4, v3
	s_delay_alu instid0(VALU_DEP_1) | instskip(NEXT) | instid1(VALU_DEP_3)
	v_dual_mov_b32 v26, v25 :: v_dual_cndmask_b32 v6, v11, v6, s4
	v_alignbit_b32 v3, v4, v7, v3
	s_delay_alu instid0(VALU_DEP_2) | instskip(NEXT) | instid1(VALU_DEP_3)
	v_mad_nc_u64_u32 v[26:27], 0xdb629599, v74, v[26:27]
	v_alignbit_b32 v11, v5, v6, 30
	s_delay_alu instid0(VALU_DEP_3) | instskip(NEXT) | instid1(VALU_DEP_2)
	v_cndmask_b32_e64 v3, v3, v4, s4
	v_xor_b32_e32 v11, v11, v17
	s_delay_alu instid0(VALU_DEP_2) | instskip(NEXT) | instid1(VALU_DEP_2)
	v_alignbit_b32 v4, v6, v3, 30
	v_clz_i32_u32_e32 v6, v11
	s_delay_alu instid0(VALU_DEP_2) | instskip(NEXT) | instid1(VALU_DEP_2)
	v_dual_mov_b32 v28, v27 :: v_dual_bitop2_b32 v4, v4, v17 bitop3:0x14
	v_min_u32_e32 v6, 32, v6
	s_delay_alu instid0(VALU_DEP_2) | instskip(NEXT) | instid1(VALU_DEP_2)
	v_mad_nc_u64_u32 v[28:29], 0xf534ddc0, v74, v[28:29]
	v_sub_nc_u32_e32 v10, 31, v6
	v_alignbit_b32 v3, v3, v7, 30
	s_delay_alu instid0(VALU_DEP_2) | instskip(NEXT) | instid1(VALU_DEP_2)
	v_alignbit_b32 v11, v11, v4, v10
	v_dual_mov_b32 v34, v29 :: v_dual_bitop2_b32 v3, v3, v17 bitop3:0x14
	s_delay_alu instid0(VALU_DEP_1) | instskip(NEXT) | instid1(VALU_DEP_2)
	v_alignbit_b32 v3, v4, v3, v10
	v_mad_nc_u64_u32 v[34:35], 0xfc2757d1, v74, v[34:35]
	s_delay_alu instid0(VALU_DEP_2) | instskip(NEXT) | instid1(VALU_DEP_1)
	v_alignbit_b32 v4, v11, v3, 9
	v_clz_i32_u32_e32 v7, v4
	s_delay_alu instid0(VALU_DEP_3) | instskip(NEXT) | instid1(VALU_DEP_2)
	v_mov_b32_e32 v36, v35
	v_min_u32_e32 v7, 32, v7
	s_delay_alu instid0(VALU_DEP_2) | instskip(NEXT) | instid1(VALU_DEP_2)
	v_mad_nc_u64_u32 v[36:37], 0x4e441529, v74, v[36:37]
	v_not_b32_e32 v10, v7
	v_add_lshl_u32 v7, v7, v6, 23
	v_lshlrev_b32_e32 v6, 23, v6
	s_delay_alu instid0(VALU_DEP_3) | instskip(SKIP_1) | instid1(VALU_DEP_2)
	v_alignbit_b32 v3, v4, v3, v10
	v_dual_lshlrev_b32 v4, 31, v12 :: v_dual_mov_b32 v44, v37
	v_lshrrev_b32_e32 v3, 9, v3
	s_delay_alu instid0(VALU_DEP_2) | instskip(NEXT) | instid1(VALU_DEP_1)
	v_or_b32_e32 v10, 0x33000000, v4
	v_dual_sub_nc_u32 v7, v10, v7 :: v_dual_bitop2_b32 v4, 0.5, v4 bitop3:0x54
	s_delay_alu instid0(VALU_DEP_1) | instskip(NEXT) | instid1(VALU_DEP_2)
	v_or_b32_e32 v3, v7, v3
	v_dual_lshrrev_b32 v7, 9, v11 :: v_dual_sub_nc_u32 v4, v4, v6
	s_delay_alu instid0(VALU_DEP_1) | instskip(NEXT) | instid1(VALU_DEP_1)
	v_or_b32_e32 v4, v7, v4
	v_mul_f32_e32 v6, 0x3fc90fda, v4
	s_delay_alu instid0(VALU_DEP_1) | instskip(NEXT) | instid1(VALU_DEP_1)
	v_fma_f32 v7, 0x3fc90fda, v4, -v6
	v_fmac_f32_e32 v7, 0x33a22168, v4
	v_mul_f32_e64 v4, 0x3f22f983, |v15|
	s_delay_alu instid0(VALU_DEP_2) | instskip(NEXT) | instid1(VALU_DEP_2)
	v_fmac_f32_e32 v7, 0x3fc90fda, v3
	v_rndne_f32_e32 v4, v4
	v_lshrrev_b32_e32 v3, 30, v5
	s_delay_alu instid0(VALU_DEP_2) | instskip(SKIP_1) | instid1(VALU_DEP_3)
	v_fma_f32 v31, 0xbfc90fda, v4, |v15|
	v_cvt_i32_f32_e32 v17, v4
	v_add_nc_u32_e32 v3, v13, v3
	v_add_f32_e32 v19, v6, v7
	s_delay_alu instid0(VALU_DEP_4) | instskip(NEXT) | instid1(VALU_DEP_1)
	v_fmac_f32_e32 v31, 0xb3a22168, v4
	v_fmac_f32_e32 v31, 0xa7c234c4, v4
	v_lshrrev_b32_e32 v4, 23, v32
	s_delay_alu instid0(VALU_DEP_1) | instskip(NEXT) | instid1(VALU_DEP_1)
	v_add_nc_u32_e32 v4, 0xffffff88, v4
	v_cmp_lt_u32_e64 s1, 63, v4
	v_mov_b32_e32 v45, v75
	s_delay_alu instid0(VALU_DEP_2) | instskip(NEXT) | instid1(VALU_DEP_2)
	v_cndmask_b32_e64 v5, 0, 0xffffffc0, s1
	v_mad_nc_u64_u32 v[44:45], 0xa2f9836e, v74, v[44:45]
	s_delay_alu instid0(VALU_DEP_2) | instskip(NEXT) | instid1(VALU_DEP_1)
	v_add_nc_u32_e32 v4, v5, v4
	v_cmp_lt_u32_e64 s2, 31, v4
	s_delay_alu instid0(VALU_DEP_3) | instskip(NEXT) | instid1(VALU_DEP_2)
	v_cndmask_b32_e64 v7, v45, v36, s1
	v_cndmask_b32_e64 v5, 0, 0xffffffe0, s2
	s_delay_alu instid0(VALU_DEP_1) | instskip(NEXT) | instid1(VALU_DEP_1)
	v_add_nc_u32_e32 v4, v5, v4
	v_cmp_lt_u32_e64 s3, 31, v4
	s_delay_alu instid0(VALU_DEP_1) | instskip(NEXT) | instid1(VALU_DEP_1)
	v_cndmask_b32_e64 v5, 0, 0xffffffe0, s3
	v_add_nc_u32_e32 v33, v5, v4
	v_cndmask_b32_e64 v4, v36, v28, s1
	v_cndmask_b32_e64 v5, v44, v34, s1
	s_delay_alu instid0(VALU_DEP_3) | instskip(SKIP_1) | instid1(VALU_DEP_3)
	v_dual_cndmask_b32 v34, v34, v26, s1 :: v_dual_sub_nc_u32 v27, 32, v33
	v_cmp_eq_u32_e64 s4, 0, v33
	v_dual_cndmask_b32 v6, v5, v4, s2 :: v_dual_cndmask_b32 v5, v7, v5, s2
	s_delay_alu instid0(VALU_DEP_3) | instskip(NEXT) | instid1(VALU_DEP_1)
	v_cndmask_b32_e64 v35, v4, v34, s2
	v_dual_cndmask_b32 v5, v5, v6, s3 :: v_dual_cndmask_b32 v29, v6, v35, s3
	s_delay_alu instid0(VALU_DEP_1) | instskip(NEXT) | instid1(VALU_DEP_1)
	v_alignbit_b32 v4, v5, v29, v27
	v_cndmask_b32_e64 v33, v4, v5, s4
	v_mul_f32_e64 v5, 0x3f22f983, |v14|
	s_delay_alu instid0(VALU_DEP_1) | instskip(NEXT) | instid1(VALU_DEP_3)
	v_rndne_f32_e32 v25, v5
	v_dual_cndmask_b32 v5, v19, v31, s0 :: v_dual_lshrrev_b32 v6, 29, v33
	v_lshrrev_b32_e32 v23, 30, v33
	v_bfe_u32 v36, v33, 29, 1
	s_delay_alu instid0(VALU_DEP_4) | instskip(NEXT) | instid1(VALU_DEP_4)
	v_cvt_i32_f32_e32 v44, v25
	v_mul_f32_e32 v7, v5, v5
	v_fma_f32 v83, 0xbfc90fda, v25, |v14|
	s_delay_alu instid0(VALU_DEP_4) | instskip(NEXT) | instid1(VALU_DEP_3)
	v_dual_add_nc_u32 v84, v6, v23 :: v_dual_add_nc_u32 v4, v36, v23
	v_fmaak_f32 v10, s36, v7, 0x3c0881c4
	s_delay_alu instid0(VALU_DEP_2) | instskip(NEXT) | instid1(VALU_DEP_2)
	v_cndmask_b32_e64 v51, v4, v44, s15
	v_fmaak_f32 v10, v7, v10, 0xbe2aaa9d
	s_delay_alu instid0(VALU_DEP_1) | instskip(NEXT) | instid1(VALU_DEP_1)
	v_mul_f32_e32 v10, v7, v10
	v_dual_fmac_f32 v5, v5, v10 :: v_dual_fmaak_f32 v10, s38, v7, 0xbab64f3b
	s_delay_alu instid0(VALU_DEP_1) | instskip(NEXT) | instid1(VALU_DEP_1)
	v_fmaak_f32 v10, v7, v10, 0x3d2aabf7
	v_fmaak_f32 v10, v7, v10, 0xbf000004
	s_delay_alu instid0(VALU_DEP_1) | instskip(SKIP_2) | instid1(VALU_DEP_2)
	v_fma_f32 v7, v7, v10, 1.0
	v_dual_cndmask_b32 v81, v3, v17, s0 :: v_dual_sub_nc_u32 v10, 0, v36
	v_and_b32_e32 v36, 0x7fffffff, v16
	v_and_b32_e32 v3, 1, v81
	s_delay_alu instid0(VALU_DEP_1) | instskip(NEXT) | instid1(VALU_DEP_1)
	v_cmp_eq_u32_e64 s0, 0, v3
	v_dual_cndmask_b32 v50, v7, v5, s0 :: v_dual_cndmask_b32 v45, -v5, v7, s0
	v_cmp_gt_i32_e64 s0, 0, v14
	s_delay_alu instid0(VALU_DEP_1) | instskip(SKIP_1) | instid1(VALU_DEP_1)
	v_cndmask_b32_e64 v3, 0, 0x40490fdb, s0
	v_cmp_eq_f32_e64 s0, 0, v15
	v_cndmask_b32_e64 v0, v0, v3, s0
	v_mov_b32_e32 v3, 0x4016cbe4
	v_cmp_class_f32_e64 s0, v14, 0x204
	s_delay_alu instid0(VALU_DEP_2) | instskip(SKIP_1) | instid1(VALU_DEP_1)
	v_cndmask_b32_e32 v3, 0x3f490fdb, v3, vcc_lo
	s_and_b32 vcc_lo, s5, s0
	v_cndmask_b32_e32 v0, v0, v3, vcc_lo
	v_cmp_o_f32_e32 vcc_lo, v14, v15
	s_delay_alu instid0(VALU_DEP_2) | instskip(SKIP_1) | instid1(VALU_DEP_1)
	v_cndmask_b32_e32 v85, 0x7fc00000, v0, vcc_lo
	v_cndmask_b32_e64 v0, v28, v24, s1
	v_cndmask_b32_e64 v3, v34, v0, s2
	s_delay_alu instid0(VALU_DEP_1) | instskip(SKIP_1) | instid1(VALU_DEP_2)
	v_cndmask_b32_e64 v4, v35, v3, s3
	v_mov_b32_e32 v35, v75
	v_alignbit_b32 v5, v29, v4, v27
	s_delay_alu instid0(VALU_DEP_1) | instskip(SKIP_1) | instid1(VALU_DEP_2)
	v_dual_cndmask_b32 v5, v5, v29, s4 :: v_dual_cndmask_b32 v11, v26, v22, s1
	v_mov_b32_e32 v29, v75
	v_alignbit_b32 v7, v33, v5, 30
	s_delay_alu instid0(VALU_DEP_3) | instskip(SKIP_1) | instid1(VALU_DEP_3)
	v_cndmask_b32_e64 v0, v0, v11, s2
	v_mov_b32_e32 v33, 0x3f317218
	v_xor_b32_e32 v7, v7, v10
	s_delay_alu instid0(VALU_DEP_3) | instskip(NEXT) | instid1(VALU_DEP_1)
	v_cndmask_b32_e64 v0, v3, v0, s3
	v_alignbit_b32 v3, v4, v0, v27
	s_delay_alu instid0(VALU_DEP_1) | instskip(NEXT) | instid1(VALU_DEP_1)
	v_cndmask_b32_e64 v3, v3, v4, s4
	v_alignbit_b32 v4, v5, v3, 30
	v_clz_i32_u32_e32 v5, v7
	s_delay_alu instid0(VALU_DEP_2) | instskip(NEXT) | instid1(VALU_DEP_2)
	v_xor_b32_e32 v4, v4, v10
	v_min_u32_e32 v5, 32, v5
	v_alignbit_b32 v0, v3, v0, 30
	s_delay_alu instid0(VALU_DEP_1) | instskip(NEXT) | instid1(VALU_DEP_1)
	v_dual_sub_nc_u32 v11, 31, v5 :: v_dual_bitop2_b32 v0, v0, v10 bitop3:0x14
	v_alignbit_b32 v7, v7, v4, v11
	s_delay_alu instid0(VALU_DEP_2) | instskip(NEXT) | instid1(VALU_DEP_1)
	v_alignbit_b32 v0, v4, v0, v11
	v_alignbit_b32 v3, v7, v0, 9
	s_delay_alu instid0(VALU_DEP_1) | instskip(NEXT) | instid1(VALU_DEP_1)
	v_clz_i32_u32_e32 v4, v3
	v_min_u32_e32 v4, 32, v4
	s_delay_alu instid0(VALU_DEP_1) | instskip(SKIP_2) | instid1(VALU_DEP_3)
	v_not_b32_e32 v10, v4
	v_add_lshl_u32 v4, v4, v5, 23
	v_lshlrev_b32_e32 v5, 23, v5
	v_alignbit_b32 v0, v3, v0, v10
	s_delay_alu instid0(VALU_DEP_1) | instskip(NEXT) | instid1(VALU_DEP_1)
	v_dual_lshrrev_b32 v0, 9, v0 :: v_dual_lshlrev_b32 v3, 31, v6
	v_or_b32_e32 v10, 0x33000000, v3
	s_delay_alu instid0(VALU_DEP_1) | instskip(NEXT) | instid1(VALU_DEP_1)
	v_sub_nc_u32_e32 v4, v10, v4
	v_or_b32_e32 v0, v4, v0
	v_or_b32_e32 v3, 0.5, v3
	v_lshrrev_b32_e32 v4, 9, v7
	v_and_b32_e32 v37, 0x7fffffff, v85
	v_bfi_b32 v19, 0x7fffffff, v85, v15
	v_cmp_class_f32_e64 s22, v85, 0x1f8
	v_sub_nc_u32_e32 v3, v3, v5
	s_delay_alu instid0(VALU_DEP_4) | instskip(NEXT) | instid1(VALU_DEP_4)
	v_and_or_b32 v74, v37, s33, 0x800000
	v_add_f32_e32 v93, v16, v19
	s_delay_alu instid0(VALU_DEP_3) | instskip(NEXT) | instid1(VALU_DEP_3)
	v_or_b32_e32 v3, v4, v3
	v_mul_u64_e32 v[26:27], s[34:35], v[74:75]
	s_delay_alu instid0(VALU_DEP_3) | instskip(SKIP_1) | instid1(VALU_DEP_4)
	v_and_b32_e32 v94, 0x7fffffff, v93
	v_cmp_gt_f32_e64 s9, 0x48000000, |v93|
	v_mul_f32_e32 v4, 0x3fc90fda, v3
	v_cmp_class_f32_e64 s12, v93, 0x1f8
	s_delay_alu instid0(VALU_DEP_2) | instskip(NEXT) | instid1(VALU_DEP_1)
	v_fma_f32 v5, 0x3fc90fda, v3, -v4
	v_fmac_f32_e32 v5, 0x33a22168, v3
	s_delay_alu instid0(VALU_DEP_1) | instskip(NEXT) | instid1(VALU_DEP_1)
	v_fmac_f32_e32 v5, 0x3fc90fda, v0
	v_dual_sub_f32 v0, v21, v20 :: v_dual_add_f32 v82, v4, v5
	s_delay_alu instid0(VALU_DEP_1) | instskip(NEXT) | instid1(VALU_DEP_1)
	v_div_scale_f32 v3, null, v0, v0, 1.0
	v_rcp_f32_e32 v4, v3
	v_mov_b32_e32 v28, v27
	s_delay_alu instid0(TRANS32_DEP_1) | instskip(SKIP_1) | instid1(VALU_DEP_3)
	v_fma_f32 v5, -v3, v4, 1.0
	v_fmac_f32_e32 v83, 0xb3a22168, v25
	v_mad_nc_u64_u32 v[28:29], 0x3c439041, v74, v[28:29]
	s_delay_alu instid0(VALU_DEP_3) | instskip(SKIP_1) | instid1(VALU_DEP_1)
	v_fmac_f32_e32 v4, v5, v4
	v_div_scale_f32 v5, vcc_lo, 1.0, v0, 1.0
	v_dual_fmac_f32 v83, 0xa7c234c4, v25 :: v_dual_mul_f32 v6, v5, v4
	s_delay_alu instid0(VALU_DEP_4) | instskip(SKIP_1) | instid1(VALU_DEP_3)
	v_dual_mov_b32 v34, v29 :: v_dual_mov_b32 v29, v75
	v_and_b32_e32 v108, 0x7fffffff, v106
	v_fma_f32 v7, -v3, v6, v5
	v_cmp_gt_f32_e64 s18, 0x48000000, |v106|
	s_delay_alu instid0(VALU_DEP_4) | instskip(SKIP_1) | instid1(VALU_DEP_4)
	v_mad_nc_u64_u32 v[34:35], 0xdb629599, v74, v[34:35]
	v_cmp_class_f32_e64 s19, v106, 0x1f8
	v_fmac_f32_e32 v6, v7, v4
	s_delay_alu instid0(VALU_DEP_1) | instskip(NEXT) | instid1(VALU_DEP_4)
	v_fma_f32 v3, -v3, v6, v5
	v_dual_mov_b32 v46, v35 :: v_dual_mov_b32 v35, v75
	s_delay_alu instid0(VALU_DEP_2) | instskip(NEXT) | instid1(VALU_DEP_2)
	v_div_fmas_f32 v3, v3, v4, v6
	v_mad_nc_u64_u32 v[46:47], 0xf534ddc0, v74, v[46:47]
	s_delay_alu instid0(VALU_DEP_2) | instskip(NEXT) | instid1(VALU_DEP_1)
	v_div_fixup_f32 v0, v3, v0, 1.0
	v_and_b32_e32 v0, 0x7fffffff, v0
	s_delay_alu instid0(VALU_DEP_3) | instskip(NEXT) | instid1(VALU_DEP_2)
	v_mov_b32_e32 v48, v47
	v_pk_mul_f32 v[4:5], v[14:15], v[0:1] op_sel_hi:[1,0]
	v_fma_f32 v0, v16, v16, 4.0
	v_mov_b32_e32 v47, v75
	s_delay_alu instid0(VALU_DEP_4) | instskip(SKIP_3) | instid1(VALU_DEP_1)
	v_mad_nc_u64_u32 v[48:49], 0xfc2757d1, v74, v[48:49]
	scratch_store_b64 off, v[4:5], off offset:28 ; 8-byte Folded Spill
	v_div_scale_f32 v3, null, v0, v0, 4.0
	s_wait_xcnt 0x0
	v_rcp_f32_e32 v4, v3
	v_dual_mov_b32 v52, v49 :: v_dual_mov_b32 v49, v75
	s_delay_alu instid0(TRANS32_DEP_1) | instskip(NEXT) | instid1(VALU_DEP_2)
	v_fma_f32 v5, -v3, v4, 1.0
	v_mad_nc_u64_u32 v[52:53], 0x4e441529, v74, v[52:53]
	s_delay_alu instid0(VALU_DEP_2) | instskip(SKIP_1) | instid1(VALU_DEP_1)
	v_fmac_f32_e32 v4, v5, v4
	v_div_scale_f32 v5, vcc_lo, 4.0, v0, 4.0
	v_mul_f32_e32 v6, v5, v4
	s_delay_alu instid0(VALU_DEP_4) | instskip(SKIP_1) | instid1(VALU_DEP_3)
	v_dual_mul_f32 v80, v16, v16 :: v_dual_mov_b32 v54, v53
	v_mov_b32_e32 v53, v75
	v_fma_f32 v7, -v3, v6, v5
	s_delay_alu instid0(VALU_DEP_1) | instskip(NEXT) | instid1(VALU_DEP_1)
	v_fmac_f32_e32 v6, v7, v4
	v_fma_f32 v3, -v3, v6, v5
	s_delay_alu instid0(VALU_DEP_1) | instskip(NEXT) | instid1(VALU_DEP_1)
	v_div_fmas_f32 v3, v3, v4, v6
	v_div_fixup_f32 v0, v3, v0, 4.0
	s_delay_alu instid0(VALU_DEP_1) | instskip(SKIP_1) | instid1(VALU_DEP_1)
	v_pk_mul_f32 v[22:23], v[14:15], v[0:1] op_sel_hi:[1,0]
	v_add_f32_e32 v0, 1.0, v16
	v_div_scale_f32 v3, null, v0, v0, 2.0
	s_delay_alu instid0(VALU_DEP_1) | instskip(SKIP_1) | instid1(TRANS32_DEP_1)
	v_rcp_f32_e32 v4, v3
	v_nop
	v_fma_f32 v5, -v3, v4, 1.0
	s_delay_alu instid0(VALU_DEP_1) | instskip(SKIP_1) | instid1(VALU_DEP_1)
	v_fmac_f32_e32 v4, v5, v4
	v_div_scale_f32 v5, vcc_lo, 2.0, v0, 2.0
	v_mul_f32_e32 v6, v5, v4
	s_delay_alu instid0(VALU_DEP_1) | instskip(NEXT) | instid1(VALU_DEP_1)
	v_fma_f32 v7, -v3, v6, v5
	v_fmac_f32_e32 v6, v7, v4
	s_delay_alu instid0(VALU_DEP_1) | instskip(NEXT) | instid1(VALU_DEP_1)
	v_fma_f32 v3, -v3, v6, v5
	v_div_fmas_f32 v3, v3, v4, v6
	s_delay_alu instid0(VALU_DEP_1) | instskip(NEXT) | instid1(VALU_DEP_1)
	v_div_fixup_f32 v0, v3, v0, 2.0
	v_pk_mul_f32 v[24:25], v[14:15], v[0:1] op_sel:[1,0] op_sel_hi:[0,0]
	v_lshrrev_b32_e32 v0, 23, v37
	s_delay_alu instid0(VALU_DEP_1) | instskip(NEXT) | instid1(VALU_DEP_1)
	v_add_nc_u32_e32 v0, 0xffffff88, v0
	v_cmp_lt_u32_e32 vcc_lo, 63, v0
	v_mov_b32_e32 v55, v75
	v_cndmask_b32_e64 v3, 0, 0xffffffc0, vcc_lo
	s_delay_alu instid0(VALU_DEP_2) | instskip(SKIP_1) | instid1(VALU_DEP_3)
	v_mad_nc_u64_u32 v[54:55], 0xa2f9836e, v74, v[54:55]
	v_and_or_b32 v74, v108, s33, 0x800000
	v_add_nc_u32_e32 v0, v3, v0
	s_delay_alu instid0(VALU_DEP_1) | instskip(NEXT) | instid1(VALU_DEP_4)
	v_cmp_lt_u32_e64 s0, 31, v0
	v_cndmask_b32_e32 v4, v54, v48, vcc_lo
	s_delay_alu instid0(VALU_DEP_2) | instskip(NEXT) | instid1(VALU_DEP_1)
	v_cndmask_b32_e64 v3, 0, 0xffffffe0, s0
	v_add_nc_u32_e32 v0, v3, v0
	s_delay_alu instid0(VALU_DEP_1) | instskip(NEXT) | instid1(VALU_DEP_1)
	v_cmp_lt_u32_e64 s1, 31, v0
	v_cndmask_b32_e64 v3, 0, 0xffffffe0, s1
	s_delay_alu instid0(VALU_DEP_1) | instskip(NEXT) | instid1(VALU_DEP_1)
	v_dual_cndmask_b32 v3, v52, v46 :: v_dual_add_nc_u32 v0, v3, v0
	v_dual_cndmask_b32 v5, v4, v3, s0 :: v_dual_cndmask_b32 v6, v55, v52, vcc_lo
	s_delay_alu instid0(VALU_DEP_2) | instskip(SKIP_1) | instid1(VALU_DEP_3)
	v_cmp_eq_u32_e64 s2, 0, v0
	v_dual_mov_b32 v55, v75 :: v_dual_sub_nc_u32 v0, 32, v0
	v_dual_cndmask_b32 v4, v6, v4, s0 :: v_dual_cndmask_b32 v6, v48, v34, vcc_lo
	s_delay_alu instid0(VALU_DEP_1) | instskip(NEXT) | instid1(VALU_DEP_1)
	v_dual_cndmask_b32 v4, v4, v5, s1 :: v_dual_cndmask_b32 v3, v3, v6, s0
	v_cndmask_b32_e64 v5, v5, v3, s1
	s_delay_alu instid0(VALU_DEP_1) | instskip(NEXT) | instid1(VALU_DEP_1)
	v_alignbit_b32 v7, v4, v5, v0
	v_cndmask_b32_e64 v109, v7, v4, s2
	s_delay_alu instid0(VALU_DEP_1) | instskip(NEXT) | instid1(VALU_DEP_1)
	v_dual_cndmask_b32 v4, v46, v28 :: v_dual_lshrrev_b32 v105, 30, v109
	v_cndmask_b32_e64 v6, v6, v4, s0
	s_delay_alu instid0(VALU_DEP_1) | instskip(NEXT) | instid1(VALU_DEP_1)
	v_cndmask_b32_e64 v3, v3, v6, s1
	v_alignbit_b32 v7, v5, v3, v0
	s_delay_alu instid0(VALU_DEP_1) | instskip(SKIP_1) | instid1(VALU_DEP_2)
	v_dual_cndmask_b32 v107, v7, v5, s2 :: v_dual_cndmask_b32 v5, v34, v26, vcc_lo
	v_mul_u64_e32 v[26:27], s[34:35], v[74:75]
	v_cndmask_b32_e64 v4, v4, v5, s0
	s_delay_alu instid0(VALU_DEP_1) | instskip(NEXT) | instid1(VALU_DEP_1)
	v_dual_cndmask_b32 v4, v6, v4, s1 :: v_dual_mov_b32 v28, v27
	v_alignbit_b32 v0, v3, v4, v0
	s_delay_alu instid0(VALU_DEP_2) | instskip(NEXT) | instid1(VALU_DEP_2)
	v_mad_nc_u64_u32 v[28:29], 0x3c439041, v74, v[28:29]
	v_dual_cndmask_b32 v110, v0, v3, s2 :: v_dual_lshrrev_b32 v0, 23, v108
	s_delay_alu instid0(VALU_DEP_1) | instskip(NEXT) | instid1(VALU_DEP_2)
	v_alignbit_b32 v111, v110, v4, 30
	v_add_nc_u32_e32 v0, 0xffffff88, v0
	s_delay_alu instid0(VALU_DEP_4) | instskip(NEXT) | instid1(VALU_DEP_2)
	v_mov_b32_e32 v34, v29
	v_cmp_lt_u32_e32 vcc_lo, 63, v0
	s_delay_alu instid0(VALU_DEP_2) | instskip(SKIP_1) | instid1(VALU_DEP_1)
	v_mad_nc_u64_u32 v[34:35], 0xdb629599, v74, v[34:35]
	v_cndmask_b32_e64 v3, 0, 0xffffffc0, vcc_lo
	v_add_nc_u32_e32 v0, v3, v0
	s_delay_alu instid0(VALU_DEP_3) | instskip(NEXT) | instid1(VALU_DEP_2)
	v_mov_b32_e32 v46, v35
	v_cmp_lt_u32_e64 s0, 31, v0
	v_cndmask_b32_e32 v17, v34, v26, vcc_lo
	s_delay_alu instid0(VALU_DEP_3) | instskip(NEXT) | instid1(VALU_DEP_3)
	v_mad_nc_u64_u32 v[46:47], 0xf534ddc0, v74, v[46:47]
	v_cndmask_b32_e64 v3, 0, 0xffffffe0, s0
	s_delay_alu instid0(VALU_DEP_2) | instskip(NEXT) | instid1(VALU_DEP_1)
	v_mov_b32_e32 v48, v47
	v_mad_nc_u64_u32 v[48:49], 0xfc2757d1, v74, v[48:49]
	s_delay_alu instid0(VALU_DEP_1) | instskip(NEXT) | instid1(VALU_DEP_1)
	v_dual_add_nc_u32 v0, v3, v0 :: v_dual_mov_b32 v52, v49
	v_cmp_lt_u32_e64 s1, 31, v0
	s_delay_alu instid0(VALU_DEP_2) | instskip(NEXT) | instid1(VALU_DEP_2)
	v_mad_nc_u64_u32 v[52:53], 0x4e441529, v74, v[52:53]
	v_cndmask_b32_e64 v3, 0, 0xffffffe0, s1
	s_delay_alu instid0(VALU_DEP_1) | instskip(NEXT) | instid1(VALU_DEP_3)
	v_dual_cndmask_b32 v3, v52, v46 :: v_dual_add_nc_u32 v0, v3, v0
	v_mov_b32_e32 v54, v53
	s_delay_alu instid0(VALU_DEP_2) | instskip(SKIP_1) | instid1(VALU_DEP_3)
	v_cmp_eq_u32_e64 s2, 0, v0
	v_dual_mov_b32 v53, v75 :: v_dual_sub_nc_u32 v0, 32, v0
	v_mad_nc_u64_u32 v[54:55], 0xa2f9836e, v74, v[54:55]
	s_delay_alu instid0(VALU_DEP_1) | instskip(NEXT) | instid1(VALU_DEP_1)
	v_cndmask_b32_e32 v4, v54, v48, vcc_lo
	v_dual_cndmask_b32 v5, v4, v3, s0 :: v_dual_cndmask_b32 v6, v55, v52, vcc_lo
	s_delay_alu instid0(VALU_DEP_1) | instskip(NEXT) | instid1(VALU_DEP_1)
	v_dual_cndmask_b32 v4, v6, v4, s0 :: v_dual_cndmask_b32 v6, v48, v34, vcc_lo
	v_dual_cndmask_b32 v3, v3, v6, s0 :: v_dual_cndmask_b32 v4, v4, v5, s1
	s_delay_alu instid0(VALU_DEP_1) | instskip(NEXT) | instid1(VALU_DEP_1)
	v_cndmask_b32_e64 v5, v5, v3, s1
	v_alignbit_b32 v7, v4, v5, v0
	s_delay_alu instid0(VALU_DEP_1) | instskip(SKIP_1) | instid1(VALU_DEP_1)
	v_cndmask_b32_e64 v4, v7, v4, s2
	v_cndmask_b32_e32 v7, v46, v28, vcc_lo
	v_cndmask_b32_e64 v6, v6, v7, s0
	s_delay_alu instid0(VALU_DEP_3) | instskip(NEXT) | instid1(VALU_DEP_1)
	v_bfe_u32 v12, v4, 29, 1
	v_dual_cndmask_b32 v3, v3, v6, s1 :: v_dual_sub_nc_u32 v13, 0, v12
	s_delay_alu instid0(VALU_DEP_1) | instskip(NEXT) | instid1(VALU_DEP_1)
	v_alignbit_b32 v10, v5, v3, v0
	v_cndmask_b32_e64 v5, v10, v5, s2
	v_cndmask_b32_e64 v7, v7, v17, s0
	s_mov_b32 s0, 0x3ab42872
	s_delay_alu instid0(VALU_DEP_2) | instskip(NEXT) | instid1(VALU_DEP_2)
	v_alignbit_b32 v10, v4, v5, 30
	v_dual_cndmask_b32 v6, v6, v7, s1 :: v_dual_lshrrev_b32 v11, 29, v4
	s_mov_b32 s1, -1.0
	s_delay_alu instid0(VALU_DEP_2) | instskip(NEXT) | instid1(VALU_DEP_2)
	v_xor_b32_e32 v10, v10, v13
	v_alignbit_b32 v0, v3, v6, v0
	v_mov_b64_e32 v[46:47], s[0:1]
	s_delay_alu instid0(VALU_DEP_2) | instskip(NEXT) | instid1(VALU_DEP_1)
	v_cndmask_b32_e64 v0, v0, v3, s2
	v_alignbit_b32 v3, v5, v0, 30
	v_clz_i32_u32_e32 v5, v10
	s_delay_alu instid0(VALU_DEP_2) | instskip(NEXT) | instid1(VALU_DEP_2)
	v_xor_b32_e32 v3, v3, v13
	v_min_u32_e32 v5, 32, v5
	v_alignbit_b32 v0, v0, v6, 30
	s_delay_alu instid0(VALU_DEP_2) | instskip(NEXT) | instid1(VALU_DEP_2)
	v_sub_nc_u32_e32 v7, 31, v5
	v_xor_b32_e32 v0, v0, v13
	s_delay_alu instid0(VALU_DEP_2) | instskip(NEXT) | instid1(VALU_DEP_2)
	v_alignbit_b32 v10, v10, v3, v7
	v_alignbit_b32 v0, v3, v0, v7
	s_delay_alu instid0(VALU_DEP_1) | instskip(NEXT) | instid1(VALU_DEP_1)
	v_alignbit_b32 v3, v10, v0, 9
	v_clz_i32_u32_e32 v6, v3
	s_delay_alu instid0(VALU_DEP_1) | instskip(NEXT) | instid1(VALU_DEP_1)
	v_min_u32_e32 v6, 32, v6
	v_not_b32_e32 v7, v6
	v_add_lshl_u32 v6, v6, v5, 23
	s_delay_alu instid0(VALU_DEP_2) | instskip(NEXT) | instid1(VALU_DEP_1)
	v_alignbit_b32 v0, v3, v0, v7
	v_dual_lshlrev_b32 v3, 31, v11 :: v_dual_lshrrev_b32 v0, 9, v0
	s_delay_alu instid0(VALU_DEP_1) | instskip(NEXT) | instid1(VALU_DEP_1)
	v_or_b32_e32 v7, 0x33000000, v3
	v_dual_sub_nc_u32 v6, v7, v6 :: v_dual_bitop2_b32 v3, 0.5, v3 bitop3:0x54
	s_delay_alu instid0(VALU_DEP_1) | instskip(SKIP_1) | instid1(VALU_DEP_1)
	v_dual_lshrrev_b32 v6, 9, v10 :: v_dual_bitop2_b32 v0, v6, v0 bitop3:0x54
	v_lshlrev_b32_e32 v5, 23, v5
	v_sub_nc_u32_e32 v3, v3, v5
	s_delay_alu instid0(VALU_DEP_1) | instskip(NEXT) | instid1(VALU_DEP_1)
	v_or_b32_e32 v3, v6, v3
	v_mul_f32_e32 v5, 0x3fc90fda, v3
	s_delay_alu instid0(VALU_DEP_1) | instskip(NEXT) | instid1(VALU_DEP_1)
	v_fma_f32 v6, 0x3fc90fda, v3, -v5
	v_fmac_f32_e32 v6, 0x33a22168, v3
	s_delay_alu instid0(VALU_DEP_1) | instskip(NEXT) | instid1(VALU_DEP_1)
	v_fmac_f32_e32 v6, 0x3fc90fda, v0
	v_dual_add_f32 v113, v5, v6 :: v_dual_lshrrev_b32 v0, 30, v4
	s_delay_alu instid0(VALU_DEP_1) | instskip(SKIP_1) | instid1(VALU_DEP_1)
	v_add_nc_u32_e32 v112, v12, v0
	v_mul_f32_e64 v0, 0x3f22f983, |v106|
	v_rndne_f32_e32 v0, v0
	s_delay_alu instid0(VALU_DEP_1) | instskip(SKIP_1) | instid1(VALU_DEP_2)
	v_fma_f32 v114, 0xbfc90fda, v0, |v106|
	v_cvt_i32_f32_e32 v115, v0
	v_fmac_f32_e32 v114, 0xb3a22168, v0
	s_delay_alu instid0(VALU_DEP_1) | instskip(SKIP_1) | instid1(VALU_DEP_1)
	v_fmac_f32_e32 v114, 0xa7c234c4, v0
	v_add_f32_e64 v0, 0xbf317218, |v14|
	v_sub_f32_e64 v27, v0, |v14|
	s_delay_alu instid0(VALU_DEP_1) | instskip(NEXT) | instid1(VALU_DEP_1)
	v_sub_f32_e32 v26, v27, v0
	v_pk_add_f32 v[26:27], v[32:33], v[26:27]
	s_delay_alu instid0(VALU_DEP_1) | instskip(NEXT) | instid1(VALU_DEP_1)
	v_sub_f32_e32 v3, v26, v27
	v_add_f32_e32 v3, 0x3102e308, v3
	s_delay_alu instid0(VALU_DEP_1) | instskip(NEXT) | instid1(VALU_DEP_1)
	v_add_f32_e32 v4, v0, v3
	v_sub_f32_e32 v0, v0, v4
	s_delay_alu instid0(VALU_DEP_1) | instskip(SKIP_1) | instid1(VALU_DEP_1)
	v_add_f32_e32 v0, v3, v0
	v_mul_f32_e32 v3, 0x3fb8aa3b, v4
	v_rndne_f32_e32 v3, v3
	s_delay_alu instid0(VALU_DEP_1) | instskip(SKIP_1) | instid1(VALU_DEP_2)
	v_fmamk_f32 v4, v3, 0xbf317200, v4
	v_mul_f32_e32 v27, 0x2ea39ef3, v3
	v_add_f32_e32 v5, v0, v4
	s_delay_alu instid0(VALU_DEP_1) | instskip(NEXT) | instid1(VALU_DEP_1)
	v_sub_f32_e32 v4, v4, v5
	v_add_f32_e32 v0, v0, v4
	v_mul_f32_e32 v4, 0x35bfbc00, v3
	v_cvt_i32_f32_e32 v3, v3
	s_delay_alu instid0(VALU_DEP_2) | instskip(NEXT) | instid1(VALU_DEP_1)
	v_sub_f32_e32 v28, v5, v4
	v_sub_f32_e32 v5, v5, v28
	s_delay_alu instid0(VALU_DEP_1) | instskip(NEXT) | instid1(VALU_DEP_1)
	v_sub_f32_e32 v4, v5, v4
	v_add_f32_e32 v0, v0, v4
	s_delay_alu instid0(VALU_DEP_1) | instskip(NEXT) | instid1(VALU_DEP_1)
	v_add_f32_e32 v29, v28, v0
	v_mov_b32_e32 v26, v29
	s_delay_alu instid0(VALU_DEP_1) | instskip(NEXT) | instid1(VALU_DEP_1)
	v_pk_add_f32 v[34:35], v[28:29], v[26:27] neg_lo:[0,1] neg_hi:[0,1]
	v_dual_sub_f32 v4, v29, v35 :: v_dual_add_f32 v0, v0, v34
	s_delay_alu instid0(VALU_DEP_1) | instskip(NEXT) | instid1(VALU_DEP_1)
	v_sub_f32_e32 v4, v4, v27
	v_add_f32_e32 v0, v0, v4
	s_delay_alu instid0(VALU_DEP_1) | instskip(NEXT) | instid1(VALU_DEP_1)
	v_add_f32_e32 v4, v35, v0
	v_dual_sub_f32 v6, v35, v4 :: v_dual_fmaak_f32 v5, s0, v4, 0x3c091de6
	v_cmp_lt_f32_e64 s0, 0x42b2d4fc, |v14|
	s_delay_alu instid0(VALU_DEP_2) | instskip(SKIP_1) | instid1(VALU_DEP_2)
	v_add_f32_e32 v0, v0, v6
	v_mul_f32_e32 v7, v4, v4
	v_add_f32_e32 v6, v0, v0
	s_delay_alu instid0(VALU_DEP_2) | instskip(NEXT) | instid1(VALU_DEP_1)
	v_fma_f32 v10, v4, v4, -v7
	v_dual_fmaak_f32 v5, v4, v5, 0x3d2aadcc :: v_dual_fmac_f32 v10, v4, v6
	s_delay_alu instid0(VALU_DEP_1) | instskip(NEXT) | instid1(VALU_DEP_1)
	v_dual_fmaak_f32 v5, v4, v5, 0x3e2aaa47 :: v_dual_add_f32 v6, v7, v10
	v_fmaak_f32 v5, v4, v5, 0x3efffffc
	s_delay_alu instid0(VALU_DEP_2) | instskip(NEXT) | instid1(VALU_DEP_1)
	v_sub_f32_e32 v7, v6, v7
	v_dual_sub_f32 v7, v10, v7 :: v_dual_mul_f32 v10, v5, v6
	s_delay_alu instid0(VALU_DEP_1) | instskip(NEXT) | instid1(VALU_DEP_1)
	v_fma_f32 v6, v6, v5, -v10
	v_fmac_f32_e32 v6, v7, v5
	s_delay_alu instid0(VALU_DEP_1) | instskip(NEXT) | instid1(VALU_DEP_1)
	v_add_f32_e32 v5, v10, v6
	v_dual_sub_f32 v7, v5, v10 :: v_dual_add_f32 v26, v4, v5
	s_delay_alu instid0(VALU_DEP_1) | instskip(NEXT) | instid1(VALU_DEP_2)
	v_sub_f32_e32 v6, v6, v7
	v_sub_f32_e32 v4, v26, v4
	s_delay_alu instid0(VALU_DEP_1) | instskip(NEXT) | instid1(VALU_DEP_1)
	v_dual_sub_f32 v4, v5, v4 :: v_dual_add_f32 v0, v0, v6
	v_add_f32_e32 v28, v0, v4
	s_delay_alu instid0(VALU_DEP_1) | instskip(NEXT) | instid1(VALU_DEP_1)
	v_dual_add_f32 v34, v26, v28 :: v_dual_mov_b32 v27, -1.0
	v_dual_mov_b32 v29, v34 :: v_dual_add_f32 v35, 1.0, v34
	s_delay_alu instid0(VALU_DEP_1) | instskip(NEXT) | instid1(VALU_DEP_3)
	v_pk_add_f32 v[46:47], v[34:35], v[46:47]
	v_pk_add_f32 v[26:27], v[34:35], v[26:27] neg_lo:[0,1] neg_hi:[0,1]
	s_delay_alu instid0(VALU_DEP_2) | instskip(NEXT) | instid1(VALU_DEP_1)
	v_mov_b32_e32 v27, v47
	v_pk_add_f32 v[26:27], v[28:29], v[26:27] neg_lo:[0,1] neg_hi:[0,1]
	s_delay_alu instid0(VALU_DEP_1) | instskip(NEXT) | instid1(VALU_DEP_1)
	v_add_f32_e32 v0, v26, v27
	v_add_f32_e32 v4, v35, v0
	s_delay_alu instid0(VALU_DEP_1) | instskip(NEXT) | instid1(VALU_DEP_1)
	v_sub_f32_e32 v5, v4, v35
	v_sub_f32_e32 v0, v0, v5
	v_ldexp_f32 v26, v4, v3
	s_delay_alu instid0(VALU_DEP_2) | instskip(NEXT) | instid1(VALU_DEP_2)
	v_ldexp_f32 v27, v0, v3
	v_rcp_f32_e32 v0, v26
	v_nop
	s_delay_alu instid0(TRANS32_DEP_1) | instskip(NEXT) | instid1(VALU_DEP_1)
	v_mul_f32_e32 v28, v26, v0
	v_fma_f32 v34, v0, v26, -v28
	s_delay_alu instid0(VALU_DEP_1) | instskip(NEXT) | instid1(VALU_DEP_1)
	v_fmac_f32_e32 v34, v0, v27
	v_add_f32_e32 v58, v28, v34
	s_delay_alu instid0(VALU_DEP_1) | instskip(NEXT) | instid1(VALU_DEP_1)
	v_dual_sub_f32 v29, 1.0, v58 :: v_dual_mov_b32 v35, v58
	v_pk_add_f32 v[46:47], v[58:59], v[28:29] neg_lo:[0,1] neg_hi:[0,1]
	v_mul_f32_e32 v58, 0x40490fdb, v16
	s_delay_alu instid0(VALU_DEP_2) | instskip(NEXT) | instid1(VALU_DEP_1)
	v_pk_add_f32 v[34:35], v[46:47], v[34:35] neg_lo:[0,1] neg_hi:[0,1]
	v_add_f32_e32 v3, v34, v35
	s_delay_alu instid0(VALU_DEP_1) | instskip(NEXT) | instid1(VALU_DEP_1)
	v_add_f32_e32 v35, v29, v3
	v_mul_f32_e32 v4, v0, v35
	s_delay_alu instid0(VALU_DEP_1) | instskip(NEXT) | instid1(VALU_DEP_1)
	v_dual_mul_f32 v28, v26, v4 :: v_dual_sub_f32 v5, v29, v35
	v_dual_fma_f32 v46, v4, v26, -v28 :: v_dual_add_f32 v3, v3, v5
	v_add_f32_e32 v5, v0, v4
	s_delay_alu instid0(VALU_DEP_2) | instskip(NEXT) | instid1(VALU_DEP_1)
	v_fmac_f32_e32 v46, v4, v27
	v_add_f32_e32 v34, v28, v46
	s_delay_alu instid0(VALU_DEP_1) | instskip(NEXT) | instid1(VALU_DEP_1)
	v_dual_sub_f32 v29, v35, v34 :: v_dual_mov_b32 v47, v34
	v_pk_add_f32 v[48:49], v[34:35], v[28:29] neg_lo:[0,1] neg_hi:[0,1]
	s_delay_alu instid0(VALU_DEP_1)
	v_pk_add_f32 v[34:35], v[48:49], v[46:47] neg_lo:[0,1] neg_hi:[0,1]
	v_mov_b32_e32 v49, v75
	v_and_b32_e32 v117, 0x7fffffff, v116
	v_mov_b32_e32 v47, v75
	v_cmp_gt_f32_e64 s20, 0x48000000, |v116|
	v_add_f32_e32 v3, v3, v35
	v_cmp_class_f32_e64 s21, v116, 0x1f8
	v_and_or_b32 v74, v117, s33, 0x800000
	s_delay_alu instid0(VALU_DEP_3) | instskip(NEXT) | instid1(VALU_DEP_1)
	v_add_f32_e32 v3, v34, v3
	v_add_f32_e32 v3, v29, v3
	s_delay_alu instid0(VALU_DEP_1) | instskip(NEXT) | instid1(VALU_DEP_1)
	v_dual_mul_f32 v3, v0, v3 :: v_dual_sub_f32 v0, v5, v0
	v_sub_f32_e32 v0, v4, v0
	s_delay_alu instid0(VALU_DEP_1) | instskip(NEXT) | instid1(VALU_DEP_1)
	v_add_f32_e32 v0, v0, v3
	v_add_f32_e32 v3, v5, v0
	s_delay_alu instid0(VALU_DEP_1) | instskip(SKIP_1) | instid1(VALU_DEP_2)
	v_sub_f32_e32 v4, v3, v5
	v_ldexp_f32 v28, v3, -2
	v_sub_f32_e32 v0, v0, v4
	s_delay_alu instid0(VALU_DEP_1) | instskip(NEXT) | instid1(VALU_DEP_1)
	v_ldexp_f32 v29, v0, -2
	v_pk_add_f32 v[34:35], v[26:27], v[28:29]
	s_delay_alu instid0(VALU_DEP_1) | instskip(NEXT) | instid1(VALU_DEP_1)
	v_sub_f32_e32 v0, v34, v26
	v_sub_f32_e32 v0, v28, v0
	s_delay_alu instid0(VALU_DEP_1) | instskip(NEXT) | instid1(VALU_DEP_1)
	v_add_f32_e32 v0, v35, v0
	v_add_f32_e32 v0, v34, v0
	s_delay_alu instid0(VALU_DEP_1) | instskip(SKIP_1) | instid1(VALU_DEP_1)
	v_cndmask_b32_e64 v35, v0, 0x7f800000, s0
	v_sub_f32_e32 v0, v26, v28
	v_sub_f32_e32 v3, v26, v0
	s_delay_alu instid0(VALU_DEP_1) | instskip(NEXT) | instid1(VALU_DEP_1)
	v_sub_f32_e32 v3, v3, v28
	v_add_f32_e32 v3, v27, v3
	v_mul_u64_e32 v[26:27], s[34:35], v[74:75]
	s_delay_alu instid0(VALU_DEP_2) | instskip(NEXT) | instid1(VALU_DEP_1)
	v_sub_f32_e32 v3, v3, v29
	v_dual_mov_b32 v29, v75 :: v_dual_add_f32 v0, v0, v3
	s_delay_alu instid0(VALU_DEP_1) | instskip(SKIP_1) | instid1(VALU_DEP_1)
	v_cndmask_b32_e64 v0, v0, 0x7f800000, s0
	v_cmp_gt_f32_e64 s0, 0x39800000, |v14|
	v_cndmask_b32_e64 v0, v0, |v14|, s0
	s_delay_alu instid0(VALU_DEP_1) | instskip(SKIP_1) | instid1(VALU_DEP_1)
	v_bfi_b32 v34, 0x7fffffff, v0, v14
	v_add_f32_e32 v0, -1.0, v15
	v_mul_f32_e32 v3, 0x3fb8aa3b, v0
	v_cmp_ngt_f32_e32 vcc_lo, 0xc2ce8ed0, v0
	v_mov_b32_e32 v28, v27
	s_delay_alu instid0(VALU_DEP_3) | instskip(SKIP_1) | instid1(VALU_DEP_3)
	v_fma_f32 v4, 0x3fb8aa3b, v0, -v3
	v_rndne_f32_e32 v5, v3
	v_mad_nc_u64_u32 v[28:29], 0x3c439041, v74, v[28:29]
	s_delay_alu instid0(VALU_DEP_2) | instskip(NEXT) | instid1(VALU_DEP_1)
	v_dual_fmac_f32 v4, 0x32a5705f, v0 :: v_dual_sub_f32 v3, v3, v5
	v_add_f32_e32 v3, v3, v4
	v_cvt_i32_f32_e32 v4, v5
	s_delay_alu instid0(VALU_DEP_4) | instskip(NEXT) | instid1(VALU_DEP_3)
	v_dual_mov_b32 v46, v29 :: v_dual_mov_b32 v29, v75
	v_exp_f32_e32 v3, v3
	s_delay_alu instid0(VALU_DEP_1) | instskip(NEXT) | instid1(TRANS32_DEP_1)
	v_mad_nc_u64_u32 v[46:47], 0xdb629599, v74, v[46:47]
	v_ldexp_f32 v3, v3, v4
	s_delay_alu instid0(VALU_DEP_1) | instskip(SKIP_1) | instid1(VALU_DEP_4)
	v_cndmask_b32_e32 v3, 0, v3, vcc_lo
	v_cmp_nlt_f32_e32 vcc_lo, 0x42b17218, v0
	v_dual_lshrrev_b32 v0, 23, v117 :: v_dual_mov_b32 v48, v47
	s_delay_alu instid0(VALU_DEP_3) | instskip(NEXT) | instid1(VALU_DEP_2)
	v_cndmask_b32_e32 v38, 0x7f800000, v3, vcc_lo
	v_add_nc_u32_e32 v0, 0xffffff88, v0
	s_delay_alu instid0(VALU_DEP_3) | instskip(NEXT) | instid1(VALU_DEP_2)
	v_mad_nc_u64_u32 v[48:49], 0xf534ddc0, v74, v[48:49]
	v_cmp_lt_u32_e32 vcc_lo, 63, v0
	v_mov_b32_e32 v55, v75
	v_cndmask_b32_e64 v3, 0, 0xffffffc0, vcc_lo
	s_delay_alu instid0(VALU_DEP_4) | instskip(NEXT) | instid1(VALU_DEP_2)
	v_dual_cndmask_b32 v17, v46, v26 :: v_dual_mov_b32 v52, v49
	v_add_nc_u32_e32 v0, v3, v0
	s_delay_alu instid0(VALU_DEP_2) | instskip(NEXT) | instid1(VALU_DEP_2)
	v_mad_nc_u64_u32 v[52:53], 0xfc2757d1, v74, v[52:53]
	v_cmp_lt_u32_e64 s0, 31, v0
	s_delay_alu instid0(VALU_DEP_1) | instskip(NEXT) | instid1(VALU_DEP_3)
	v_cndmask_b32_e64 v3, 0, 0xffffffe0, s0
	v_dual_mov_b32 v54, v53 :: v_dual_mov_b32 v53, v75
	s_delay_alu instid0(VALU_DEP_2) | instskip(NEXT) | instid1(VALU_DEP_2)
	v_add_nc_u32_e32 v0, v3, v0
	v_mad_nc_u64_u32 v[54:55], 0x4e441529, v74, v[54:55]
	s_delay_alu instid0(VALU_DEP_2) | instskip(NEXT) | instid1(VALU_DEP_1)
	v_cmp_lt_u32_e64 s1, 31, v0
	v_cndmask_b32_e64 v3, 0, 0xffffffe0, s1
	s_delay_alu instid0(VALU_DEP_3) | instskip(NEXT) | instid1(VALU_DEP_2)
	v_mov_b32_e32 v56, v55
	v_add_nc_u32_e32 v0, v3, v0
	v_dual_cndmask_b32 v3, v54, v48, vcc_lo :: v_dual_mov_b32 v55, v75
	s_delay_alu instid0(VALU_DEP_3) | instskip(NEXT) | instid1(VALU_DEP_3)
	v_mad_nc_u64_u32 v[56:57], 0xa2f9836e, v74, v[56:57]
	v_cmp_eq_u32_e64 s2, 0, v0
	s_delay_alu instid0(VALU_DEP_2) | instskip(NEXT) | instid1(VALU_DEP_1)
	v_dual_cndmask_b32 v4, v56, v52, vcc_lo :: v_dual_cndmask_b32 v6, v57, v54, vcc_lo
	v_dual_cndmask_b32 v5, v4, v3, s0 :: v_dual_cndmask_b32 v4, v6, v4, s0
	v_cndmask_b32_e32 v6, v52, v46, vcc_lo
	s_delay_alu instid0(VALU_DEP_1) | instskip(NEXT) | instid1(VALU_DEP_1)
	v_dual_cndmask_b32 v4, v4, v5, s1 :: v_dual_cndmask_b32 v3, v3, v6, s0
	v_dual_cndmask_b32 v5, v5, v3, s1 :: v_dual_sub_nc_u32 v0, 32, v0
	s_delay_alu instid0(VALU_DEP_1) | instskip(NEXT) | instid1(VALU_DEP_1)
	v_alignbit_b32 v7, v4, v5, v0
	v_cndmask_b32_e64 v4, v7, v4, s2
	v_cndmask_b32_e32 v7, v48, v28, vcc_lo
	s_delay_alu instid0(VALU_DEP_1) | instskip(NEXT) | instid1(VALU_DEP_1)
	v_cndmask_b32_e64 v6, v6, v7, s0
	v_cndmask_b32_e64 v3, v3, v6, s1
	;; [unrolled: 1-line block ×3, first 2 shown]
	s_mov_b32 s0, 0x40400000
	v_sub_f32_e32 v17, v19, v16
	v_pk_mul_f32 v[46:47], v[14:15], s[0:1] op_sel_hi:[1,0]
	v_alignbit_b32 v10, v5, v3, v0
	s_delay_alu instid0(VALU_DEP_3) | instskip(NEXT) | instid1(VALU_DEP_3)
	v_and_b32_e32 v86, 0x7fffffff, v17
	v_and_b32_e32 v48, 0x7fffffff, v46
	s_delay_alu instid0(VALU_DEP_3)
	v_cndmask_b32_e64 v5, v10, v5, s2
	v_bfe_u32 v12, v4, 29, 1
	v_and_b32_e32 v49, 0x7fffffff, v47
	v_cmp_class_f32_e64 s10, v46, 0x1f8
	v_and_or_b32 v74, v48, s33, 0x800000
	v_alignbit_b32 v10, v4, v5, 30
	v_dual_sub_nc_u32 v13, 0, v12 :: v_dual_cndmask_b32 v6, v6, v7, s1
	v_lshrrev_b32_e32 v11, 29, v4
	s_delay_alu instid0(VALU_DEP_4) | instskip(SKIP_1) | instid1(VALU_DEP_4)
	v_mul_u64_e32 v[26:27], s[34:35], v[74:75]
	v_cmp_class_f32_e64 s11, v47, 0x1f8
	v_xor_b32_e32 v10, v10, v13
	v_alignbit_b32 v0, v3, v6, v0
	v_cmp_class_f32_e64 s8, v17, 0x1f8
	s_delay_alu instid0(VALU_DEP_2) | instskip(NEXT) | instid1(VALU_DEP_1)
	v_cndmask_b32_e64 v0, v0, v3, s2
	v_alignbit_b32 v3, v5, v0, 30
	v_clz_i32_u32_e32 v5, v10
	s_delay_alu instid0(VALU_DEP_2) | instskip(NEXT) | instid1(VALU_DEP_2)
	v_xor_b32_e32 v3, v3, v13
	v_min_u32_e32 v5, 32, v5
	v_alignbit_b32 v0, v0, v6, 30
	s_delay_alu instid0(VALU_DEP_2) | instskip(NEXT) | instid1(VALU_DEP_2)
	v_sub_nc_u32_e32 v7, 31, v5
	v_xor_b32_e32 v0, v0, v13
	s_delay_alu instid0(VALU_DEP_2) | instskip(NEXT) | instid1(VALU_DEP_2)
	v_alignbit_b32 v10, v10, v3, v7
	v_alignbit_b32 v0, v3, v0, v7
	v_mov_b32_e32 v28, v27
	s_delay_alu instid0(VALU_DEP_2) | instskip(NEXT) | instid1(VALU_DEP_2)
	v_alignbit_b32 v3, v10, v0, 9
	v_mad_nc_u64_u32 v[28:29], 0x3c439041, v74, v[28:29]
	s_delay_alu instid0(VALU_DEP_2) | instskip(NEXT) | instid1(VALU_DEP_1)
	v_clz_i32_u32_e32 v6, v3
	v_min_u32_e32 v6, 32, v6
	s_delay_alu instid0(VALU_DEP_3) | instskip(NEXT) | instid1(VALU_DEP_2)
	v_dual_mov_b32 v52, v29 :: v_dual_mov_b32 v29, v75
	v_not_b32_e32 v7, v6
	v_add_lshl_u32 v6, v6, v5, 23
	s_delay_alu instid0(VALU_DEP_3) | instskip(NEXT) | instid1(VALU_DEP_3)
	v_mad_nc_u64_u32 v[60:61], 0xdb629599, v74, v[52:53]
	v_alignbit_b32 v0, v3, v0, v7
	s_delay_alu instid0(VALU_DEP_1) | instskip(NEXT) | instid1(VALU_DEP_1)
	v_dual_lshlrev_b32 v3, 31, v11 :: v_dual_lshrrev_b32 v0, 9, v0
	v_or_b32_e32 v7, 0x33000000, v3
	s_delay_alu instid0(VALU_DEP_4) | instskip(SKIP_1) | instid1(VALU_DEP_3)
	v_dual_mov_b32 v52, v61 :: v_dual_bitop2_b32 v3, 0.5, v3 bitop3:0x54
	v_mov_b32_e32 v61, v75
	v_sub_nc_u32_e32 v6, v7, v6
	s_delay_alu instid0(VALU_DEP_3) | instskip(NEXT) | instid1(VALU_DEP_2)
	v_mad_nc_u64_u32 v[52:53], 0xf534ddc0, v74, v[52:53]
	v_dual_lshrrev_b32 v6, 9, v10 :: v_dual_bitop2_b32 v0, v6, v0 bitop3:0x54
	v_lshlrev_b32_e32 v5, 23, v5
	s_delay_alu instid0(VALU_DEP_1) | instskip(NEXT) | instid1(VALU_DEP_1)
	v_dual_mov_b32 v54, v53 :: v_dual_sub_nc_u32 v3, v3, v5
	v_or_b32_e32 v3, v6, v3
	s_delay_alu instid0(VALU_DEP_2) | instskip(NEXT) | instid1(VALU_DEP_2)
	v_mad_nc_u64_u32 v[62:63], 0xfc2757d1, v74, v[54:55]
	v_mul_f32_e32 v5, 0x3fc90fda, v3
	s_delay_alu instid0(VALU_DEP_1) | instskip(NEXT) | instid1(VALU_DEP_1)
	v_fma_f32 v6, 0x3fc90fda, v3, -v5
	v_fmac_f32_e32 v6, 0x33a22168, v3
	s_delay_alu instid0(VALU_DEP_1) | instskip(NEXT) | instid1(VALU_DEP_1)
	v_fmac_f32_e32 v6, 0x3fc90fda, v0
	v_dual_lshrrev_b32 v0, 30, v4 :: v_dual_add_f32 v118, v5, v6
	s_delay_alu instid0(VALU_DEP_1) | instskip(SKIP_1) | instid1(VALU_DEP_1)
	v_add_nc_u32_e32 v119, v12, v0
	v_mul_f32_e64 v0, 0x3f22f983, |v116|
	v_rndne_f32_e32 v0, v0
	s_delay_alu instid0(VALU_DEP_1) | instskip(SKIP_1) | instid1(VALU_DEP_2)
	v_fma_f32 v120, 0xbfc90fda, v0, |v116|
	v_cvt_i32_f32_e32 v121, v0
	v_fmac_f32_e32 v120, 0xb3a22168, v0
	s_delay_alu instid0(VALU_DEP_1) | instskip(SKIP_1) | instid1(VALU_DEP_1)
	v_fmac_f32_e32 v120, 0xa7c234c4, v0
	v_lshrrev_b32_e32 v0, 23, v48
	v_add_nc_u32_e32 v0, 0xffffff88, v0
	s_delay_alu instid0(VALU_DEP_1) | instskip(SKIP_2) | instid1(VALU_DEP_2)
	v_cmp_lt_u32_e32 vcc_lo, 63, v0
	v_dual_mov_b32 v54, v63 :: v_dual_mov_b32 v63, v75
	v_cndmask_b32_e64 v3, 0, 0xffffffc0, vcc_lo
	v_mad_nc_u64_u32 v[64:65], 0x4e441529, v74, v[54:55]
	s_delay_alu instid0(VALU_DEP_2) | instskip(NEXT) | instid1(VALU_DEP_1)
	v_add_nc_u32_e32 v0, v3, v0
	v_cmp_lt_u32_e64 s13, 31, v0
	s_delay_alu instid0(VALU_DEP_3) | instskip(SKIP_1) | instid1(VALU_DEP_3)
	v_dual_mov_b32 v54, v65 :: v_dual_cndmask_b32 v56, v64, v52, vcc_lo
	v_mov_b32_e32 v65, v75
	v_cndmask_b32_e64 v3, 0, 0xffffffe0, s13
	s_delay_alu instid0(VALU_DEP_3) | instskip(SKIP_1) | instid1(VALU_DEP_3)
	v_mad_nc_u64_u32 v[54:55], 0xa2f9836e, v74, v[54:55]
	v_and_or_b32 v74, v49, s33, 0x800000
	v_add_nc_u32_e32 v103, v3, v0
	v_cndmask_b32_e32 v0, v62, v60, vcc_lo
	v_cndmask_b32_e32 v3, v52, v28, vcc_lo
	s_delay_alu instid0(VALU_DEP_2) | instskip(NEXT) | instid1(VALU_DEP_2)
	v_cndmask_b32_e64 v57, v56, v0, s13
	v_dual_cndmask_b32 v52, v0, v3, s13 :: v_dual_cndmask_b32 v54, v54, v62, vcc_lo
	v_cndmask_b32_e32 v0, v60, v26, vcc_lo
	v_mul_u64_e32 v[26:27], s[34:35], v[74:75]
	v_cndmask_b32_e32 v55, v55, v64, vcc_lo
	s_delay_alu instid0(VALU_DEP_3) | instskip(NEXT) | instid1(VALU_DEP_1)
	v_dual_cndmask_b32 v53, v3, v0, s13 :: v_dual_lshrrev_b32 v0, 23, v49
	v_add_nc_u32_e32 v0, 0xffffff88, v0
	s_delay_alu instid0(VALU_DEP_1) | instskip(SKIP_2) | instid1(VALU_DEP_1)
	v_cmp_lt_u32_e32 vcc_lo, 63, v0
	v_cndmask_b32_e64 v3, 0, 0xffffffc0, vcc_lo
	v_mov_b32_e32 v28, v27
	v_mad_nc_u64_u32 v[28:29], 0x3c439041, v74, v[28:29]
	s_delay_alu instid0(VALU_DEP_1) | instskip(NEXT) | instid1(VALU_DEP_1)
	v_dual_add_nc_u32 v0, v3, v0 :: v_dual_mov_b32 v60, v29
	v_cmp_lt_u32_e64 s14, 31, v0
	s_delay_alu instid0(VALU_DEP_2) | instskip(NEXT) | instid1(VALU_DEP_2)
	v_mad_nc_u64_u32 v[60:61], 0xdb629599, v74, v[60:61]
	v_cndmask_b32_e64 v3, 0, 0xffffffe0, s14
	s_delay_alu instid0(VALU_DEP_1) | instskip(SKIP_1) | instid1(VALU_DEP_2)
	v_dual_add_nc_u32 v104, v3, v0 :: v_dual_mov_b32 v62, v61
	v_mov_b32_e32 v61, v75
	v_mad_nc_u64_u32 v[62:63], 0xf534ddc0, v74, v[62:63]
	s_delay_alu instid0(VALU_DEP_1) | instskip(NEXT) | instid1(VALU_DEP_2)
	v_dual_mov_b32 v67, v75 :: v_dual_mov_b32 v64, v63
	v_dual_cndmask_b32 v3, v62, v28, vcc_lo :: v_dual_mov_b32 v63, v75
	s_delay_alu instid0(VALU_DEP_2) | instskip(NEXT) | instid1(VALU_DEP_1)
	v_mad_nc_u64_u32 v[64:65], 0xfc2757d1, v74, v[64:65]
	v_dual_mov_b32 v66, v65 :: v_dual_cndmask_b32 v0, v64, v60, vcc_lo
	v_mov_b32_e32 v65, v75
	s_delay_alu instid0(VALU_DEP_2) | instskip(NEXT) | instid1(VALU_DEP_1)
	v_mad_nc_u64_u32 v[66:67], 0x4e441529, v74, v[66:67]
	v_dual_mov_b32 v68, v67 :: v_dual_cndmask_b32 v102, v66, v62, vcc_lo
	s_delay_alu instid0(VALU_DEP_1) | instskip(NEXT) | instid1(VALU_DEP_2)
	v_mad_nc_u64_u32 v[70:71], 0xa2f9836e, v74, v[68:69]
	v_cndmask_b32_e64 v68, v102, v0, s14
	v_and_or_b32 v74, v86, s33, 0x800000
	s_delay_alu instid0(VALU_DEP_1) | instskip(NEXT) | instid1(VALU_DEP_4)
	v_mul_u64_e32 v[28:29], s[34:35], v[74:75]
	v_dual_cndmask_b32 v69, v70, v64, vcc_lo :: v_dual_cndmask_b32 v101, v71, v66, vcc_lo
	v_cndmask_b32_e64 v66, v0, v3, s14
	v_cndmask_b32_e32 v0, v60, v26, vcc_lo
	v_cmp_le_f32_e32 vcc_lo, 0, v15
	v_mov_b32_e32 v71, v75
	v_mov_b64_e32 v[26:27], 0x400000003f000000
	s_delay_alu instid0(VALU_DEP_4) | instskip(SKIP_2) | instid1(VALU_DEP_4)
	v_cndmask_b32_e64 v67, v3, v0, s14
	v_cndmask_b32_e64 v0, 0, 2, vcc_lo
	v_cmp_le_f32_e32 vcc_lo, 0, v14
	v_pk_mul_f32 v[26:27], v[14:15], v[26:27]
	v_cndmask_b32_e64 v3, 0, 1, vcc_lo
	v_cmp_gt_f32_e32 vcc_lo, 0xf800000, v16
	s_delay_alu instid0(VALU_DEP_2) | instskip(SKIP_1) | instid1(VALU_DEP_1)
	v_or_b32_e32 v20, v0, v3
	v_mul_f32_e32 v0, 0x4f800000, v16
	v_dual_cndmask_b32 v0, v16, v0, vcc_lo :: v_dual_mov_b32 v60, v29
	s_delay_alu instid0(VALU_DEP_1) | instskip(NEXT) | instid1(VALU_DEP_1)
	v_sqrt_f32_e32 v3, v0
	v_mad_nc_u64_u32 v[60:61], 0x3c439041, v74, v[60:61]
	s_delay_alu instid0(TRANS32_DEP_1) | instskip(NEXT) | instid1(VALU_DEP_1)
	v_add_nc_u32_e32 v4, -1, v3
	v_dual_fma_f32 v5, -v4, v3, v0 :: v_dual_mov_b32 v62, v61
	v_mov_b32_e32 v61, v75
	s_delay_alu instid0(VALU_DEP_2) | instskip(SKIP_1) | instid1(VALU_DEP_4)
	v_cmp_ge_f32_e64 s0, 0, v5
	v_add_nc_u32_e32 v5, 1, v3
	v_mad_nc_u64_u32 v[62:63], 0xdb629599, v74, v[62:63]
	s_delay_alu instid0(VALU_DEP_2) | instskip(NEXT) | instid1(VALU_DEP_1)
	v_dual_cndmask_b32 v4, v3, v4, s0 :: v_dual_fma_f32 v3, -v5, v3, v0
	v_cmp_lt_f32_e64 s0, 0, v3
	s_delay_alu instid0(VALU_DEP_3) | instskip(NEXT) | instid1(VALU_DEP_2)
	v_dual_mov_b32 v64, v63 :: v_dual_mov_b32 v63, v75
	v_cndmask_b32_e64 v3, v4, v5, s0
	s_delay_alu instid0(VALU_DEP_2) | instskip(NEXT) | instid1(VALU_DEP_2)
	v_mad_nc_u64_u32 v[64:65], 0xf534ddc0, v74, v[64:65]
	v_mul_f32_e32 v4, 0x37800000, v3
	s_delay_alu instid0(VALU_DEP_1) | instskip(SKIP_1) | instid1(VALU_DEP_4)
	v_cndmask_b32_e32 v3, v3, v4, vcc_lo
	v_cmp_class_f32_e64 vcc_lo, v0, 0x260
	v_dual_mov_b32 v70, v65 :: v_dual_mov_b32 v65, v75
	s_delay_alu instid0(VALU_DEP_3) | instskip(NEXT) | instid1(VALU_DEP_2)
	v_dual_cndmask_b32 v21, v3, v0 :: v_dual_mul_f32 v0, 0.5, v19
	v_mad_nc_u64_u32 v[70:71], 0xfc2757d1, v74, v[70:71]
	v_cmp_gt_f32_e64 vcc_lo, 0x48000000, |v17|
	scratch_store_b32 off, v0, off offset:24 ; 4-byte Folded Spill
	s_wait_xcnt 0x0
	v_lshrrev_b32_e32 v0, 23, v86
	s_delay_alu instid0(VALU_DEP_1) | instskip(SKIP_1) | instid1(VALU_DEP_2)
	v_add_nc_u32_e32 v0, 0xffffff88, v0
	v_dual_mov_b32 v72, v71 :: v_dual_mov_b32 v71, v75
	v_cmp_lt_u32_e64 s0, 63, v0
	s_delay_alu instid0(VALU_DEP_2) | instskip(SKIP_1) | instid1(VALU_DEP_3)
	v_mad_nc_u64_u32 v[72:73], 0x4e441529, v74, v[72:73]
	v_mov_b32_e32 v89, v75
	v_cndmask_b32_e64 v3, 0, 0xffffffc0, s0
	v_cndmask_b32_e64 v28, v62, v28, s0
	s_delay_alu instid0(VALU_DEP_2) | instskip(SKIP_1) | instid1(VALU_DEP_2)
	v_dual_add_nc_u32 v0, v3, v0 :: v_dual_mov_b32 v88, v73
	v_mov_b32_e32 v73, v75
	v_cmp_lt_u32_e64 s1, 31, v0
	s_delay_alu instid0(VALU_DEP_3) | instskip(SKIP_1) | instid1(VALU_DEP_3)
	v_mad_nc_u64_u32 v[88:89], 0xa2f9836e, v74, v[88:89]
	v_and_or_b32 v74, v94, s33, 0x800000
	v_cndmask_b32_e64 v3, 0, 0xffffffe0, s1
	s_delay_alu instid0(VALU_DEP_1) | instskip(NEXT) | instid1(VALU_DEP_4)
	v_dual_add_nc_u32 v0, v3, v0 :: v_dual_cndmask_b32 v4, v88, v70, s0
	v_cndmask_b32_e64 v6, v89, v72, s0
	s_delay_alu instid0(VALU_DEP_2) | instskip(SKIP_1) | instid1(VALU_DEP_2)
	v_cmp_lt_u32_e64 s2, 31, v0
	v_mov_b32_e32 v89, v75
	v_cndmask_b32_e64 v3, 0, 0xffffffe0, s2
	s_delay_alu instid0(VALU_DEP_1) | instskip(SKIP_1) | instid1(VALU_DEP_2)
	v_add_nc_u32_e32 v0, v3, v0
	v_cndmask_b32_e64 v3, v72, v64, s0
	v_cmp_eq_u32_e64 s3, 0, v0
	s_delay_alu instid0(VALU_DEP_2) | instskip(SKIP_1) | instid1(VALU_DEP_1)
	v_dual_cndmask_b32 v5, v4, v3, s1 :: v_dual_cndmask_b32 v4, v6, v4, s1
	v_dual_cndmask_b32 v6, v70, v62, s0 :: v_dual_sub_nc_u32 v0, 32, v0
	v_dual_cndmask_b32 v3, v3, v6, s1 :: v_dual_cndmask_b32 v4, v4, v5, s2
	s_delay_alu instid0(VALU_DEP_1) | instskip(NEXT) | instid1(VALU_DEP_1)
	v_cndmask_b32_e64 v5, v5, v3, s2
	v_alignbit_b32 v7, v4, v5, v0
	s_delay_alu instid0(VALU_DEP_1) | instskip(SKIP_1) | instid1(VALU_DEP_1)
	v_cndmask_b32_e64 v4, v7, v4, s3
	v_cndmask_b32_e64 v7, v64, v60, s0
	;; [unrolled: 1-line block ×3, first 2 shown]
	s_delay_alu instid0(VALU_DEP_3) | instskip(NEXT) | instid1(VALU_DEP_2)
	v_bfe_u32 v12, v4, 29, 1
	v_dual_lshrrev_b32 v11, 29, v4 :: v_dual_cndmask_b32 v3, v3, v6, s2
	v_cndmask_b32_e64 v7, v7, v28, s1
	s_delay_alu instid0(VALU_DEP_3) | instskip(SKIP_1) | instid1(VALU_DEP_4)
	v_sub_nc_u32_e32 v13, 0, v12
	v_mul_u64_e32 v[28:29], s[34:35], v[74:75]
	v_alignbit_b32 v10, v5, v3, v0
	s_delay_alu instid0(VALU_DEP_4) | instskip(NEXT) | instid1(VALU_DEP_2)
	v_cndmask_b32_e64 v6, v6, v7, s2
	v_cndmask_b32_e64 v5, v10, v5, s3
	s_delay_alu instid0(VALU_DEP_2) | instskip(NEXT) | instid1(VALU_DEP_2)
	v_alignbit_b32 v0, v3, v6, v0
	v_alignbit_b32 v10, v4, v5, 30
	s_delay_alu instid0(VALU_DEP_1) | instskip(NEXT) | instid1(VALU_DEP_1)
	v_dual_cndmask_b32 v0, v0, v3, s3 :: v_dual_bitop2_b32 v10, v10, v13 bitop3:0x14
	v_alignbit_b32 v3, v5, v0, 30
	v_alignbit_b32 v0, v0, v6, 30
	s_delay_alu instid0(VALU_DEP_3) | instskip(NEXT) | instid1(VALU_DEP_3)
	v_clz_i32_u32_e32 v5, v10
	v_xor_b32_e32 v3, v3, v13
	s_delay_alu instid0(VALU_DEP_3) | instskip(NEXT) | instid1(VALU_DEP_3)
	v_xor_b32_e32 v0, v0, v13
	v_min_u32_e32 v5, 32, v5
	s_delay_alu instid0(VALU_DEP_1) | instskip(NEXT) | instid1(VALU_DEP_1)
	v_dual_mov_b32 v60, v29 :: v_dual_sub_nc_u32 v7, 31, v5
	v_alignbit_b32 v10, v10, v3, v7
	s_delay_alu instid0(VALU_DEP_4) | instskip(NEXT) | instid1(VALU_DEP_3)
	v_alignbit_b32 v0, v3, v0, v7
	v_mad_nc_u64_u32 v[60:61], 0x3c439041, v74, v[60:61]
	s_delay_alu instid0(VALU_DEP_2) | instskip(NEXT) | instid1(VALU_DEP_1)
	v_alignbit_b32 v3, v10, v0, 9
	v_clz_i32_u32_e32 v6, v3
	s_delay_alu instid0(VALU_DEP_3) | instskip(NEXT) | instid1(VALU_DEP_2)
	v_dual_mov_b32 v62, v61 :: v_dual_mov_b32 v61, v75
	v_min_u32_e32 v6, 32, v6
	s_delay_alu instid0(VALU_DEP_2) | instskip(NEXT) | instid1(VALU_DEP_2)
	v_mad_nc_u64_u32 v[62:63], 0xdb629599, v74, v[62:63]
	v_not_b32_e32 v7, v6
	v_add_lshl_u32 v6, v6, v5, 23
	v_lshlrev_b32_e32 v5, 23, v5
	s_delay_alu instid0(VALU_DEP_3) | instskip(SKIP_1) | instid1(VALU_DEP_2)
	v_alignbit_b32 v0, v3, v0, v7
	v_dual_mov_b32 v64, v63 :: v_dual_lshlrev_b32 v3, 31, v11
	v_dual_mov_b32 v63, v75 :: v_dual_lshrrev_b32 v0, 9, v0
	s_delay_alu instid0(VALU_DEP_2) | instskip(NEXT) | instid1(VALU_DEP_3)
	v_or_b32_e32 v7, 0x33000000, v3
	v_mad_nc_u64_u32 v[64:65], 0xf534ddc0, v74, v[64:65]
	s_delay_alu instid0(VALU_DEP_2) | instskip(NEXT) | instid1(VALU_DEP_1)
	v_dual_sub_nc_u32 v6, v7, v6 :: v_dual_bitop2_b32 v3, 0.5, v3 bitop3:0x54
	v_dual_lshrrev_b32 v6, 9, v10 :: v_dual_bitop2_b32 v0, v6, v0 bitop3:0x54
	s_delay_alu instid0(VALU_DEP_2) | instskip(NEXT) | instid1(VALU_DEP_1)
	v_dual_mov_b32 v70, v65 :: v_dual_sub_nc_u32 v3, v3, v5
	v_dual_mov_b32 v65, v75 :: v_dual_bitop2_b32 v3, v6, v3 bitop3:0x54
	s_delay_alu instid0(VALU_DEP_2) | instskip(NEXT) | instid1(VALU_DEP_2)
	v_mad_nc_u64_u32 v[70:71], 0xfc2757d1, v74, v[70:71]
	v_mul_f32_e32 v5, 0x3fc90fda, v3
	s_delay_alu instid0(VALU_DEP_1) | instskip(NEXT) | instid1(VALU_DEP_3)
	v_fma_f32 v6, 0x3fc90fda, v3, -v5
	v_dual_mov_b32 v72, v71 :: v_dual_mov_b32 v71, v75
	s_delay_alu instid0(VALU_DEP_2) | instskip(SKIP_1) | instid1(VALU_DEP_3)
	v_dual_fmac_f32 v6, 0x33a22168, v3 :: v_dual_lshrrev_b32 v3, 30, v4
	v_mul_f32_e64 v4, 0x3f22f983, |v17|
	v_mad_nc_u64_u32 v[72:73], 0x4e441529, v74, v[72:73]
	s_delay_alu instid0(VALU_DEP_3) | instskip(NEXT) | instid1(VALU_DEP_3)
	v_dual_fmac_f32 v6, 0x3fc90fda, v0 :: v_dual_add_nc_u32 v3, v12, v3
	v_rndne_f32_e32 v4, v4
	s_delay_alu instid0(VALU_DEP_2) | instskip(NEXT) | instid1(VALU_DEP_2)
	v_add_f32_e32 v0, v5, v6
	v_fma_f32 v5, 0xbfc90fda, v4, |v17|
	v_dual_mov_b32 v88, v73 :: v_dual_mov_b32 v73, v75
	s_delay_alu instid0(VALU_DEP_2) | instskip(NEXT) | instid1(VALU_DEP_2)
	v_fmac_f32_e32 v5, 0xb3a22168, v4
	v_mad_nc_u64_u32 v[88:89], 0xa2f9836e, v74, v[88:89]
	v_and_or_b32 v74, v36, s33, 0x800000
	s_delay_alu instid0(VALU_DEP_3) | instskip(SKIP_1) | instid1(VALU_DEP_1)
	v_fmac_f32_e32 v5, 0xa7c234c4, v4
	v_cvt_i32_f32_e32 v4, v4
	v_dual_cndmask_b32 v91, v0, v5, vcc_lo :: v_dual_cndmask_b32 v95, v3, v4, vcc_lo
	s_delay_alu instid0(VALU_DEP_1) | instskip(NEXT) | instid1(VALU_DEP_1)
	v_mul_f32_e32 v0, v91, v91
	v_fmaak_f32 v3, s36, v0, 0x3c0881c4
	s_delay_alu instid0(VALU_DEP_1) | instskip(NEXT) | instid1(VALU_DEP_1)
	v_fmaak_f32 v3, v0, v3, 0xbe2aaa9d
	v_mul_f32_e32 v3, v0, v3
	s_delay_alu instid0(VALU_DEP_1) | instskip(SKIP_1) | instid1(VALU_DEP_1)
	v_fmac_f32_e32 v91, v91, v3
	v_fmaak_f32 v3, s38, v0, 0xbab64f3b
	v_fmaak_f32 v3, v0, v3, 0x3d2aabf7
	s_delay_alu instid0(VALU_DEP_1) | instskip(NEXT) | instid1(VALU_DEP_1)
	v_fmaak_f32 v3, v0, v3, 0xbf000004
	v_fma_f32 v92, v0, v3, 1.0
	v_and_b32_e32 v0, 1, v95
	s_delay_alu instid0(VALU_DEP_1) | instskip(NEXT) | instid1(VALU_DEP_1)
	v_cmp_eq_u32_e64 s7, 0, v0
	v_dual_lshrrev_b32 v0, 23, v94 :: v_dual_cndmask_b32 v96, -v91, v92, s7
	s_delay_alu instid0(VALU_DEP_1) | instskip(NEXT) | instid1(VALU_DEP_1)
	v_add_nc_u32_e32 v0, 0xffffff88, v0
	v_cmp_lt_u32_e32 vcc_lo, 63, v0
	v_cndmask_b32_e64 v3, 0, 0xffffffc0, vcc_lo
	v_dual_cndmask_b32 v4, v88, v70, vcc_lo :: v_dual_cndmask_b32 v6, v89, v72, vcc_lo
	s_delay_alu instid0(VALU_DEP_2) | instskip(NEXT) | instid1(VALU_DEP_1)
	v_add_nc_u32_e32 v0, v3, v0
	v_cmp_lt_u32_e64 s0, 31, v0
	s_delay_alu instid0(VALU_DEP_1) | instskip(NEXT) | instid1(VALU_DEP_1)
	v_cndmask_b32_e64 v3, 0, 0xffffffe0, s0
	v_add_nc_u32_e32 v0, v3, v0
	s_delay_alu instid0(VALU_DEP_1) | instskip(NEXT) | instid1(VALU_DEP_1)
	v_cmp_lt_u32_e64 s1, 31, v0
	v_cndmask_b32_e64 v3, 0, 0xffffffe0, s1
	s_delay_alu instid0(VALU_DEP_1) | instskip(SKIP_1) | instid1(VALU_DEP_1)
	v_add_nc_u32_e32 v0, v3, v0
	v_cndmask_b32_e32 v3, v72, v64, vcc_lo
	v_dual_cndmask_b32 v5, v4, v3, s0 :: v_dual_cndmask_b32 v4, v6, v4, s0
	v_cndmask_b32_e32 v6, v70, v62, vcc_lo
	s_delay_alu instid0(VALU_DEP_1) | instskip(SKIP_1) | instid1(VALU_DEP_2)
	v_dual_cndmask_b32 v3, v3, v6, s0 :: v_dual_cndmask_b32 v4, v4, v5, s1
	v_cmp_eq_u32_e64 s2, 0, v0
	v_dual_cndmask_b32 v5, v5, v3, s1 :: v_dual_sub_nc_u32 v0, 32, v0
	s_delay_alu instid0(VALU_DEP_1) | instskip(NEXT) | instid1(VALU_DEP_1)
	v_alignbit_b32 v7, v4, v5, v0
	v_cndmask_b32_e64 v4, v7, v4, s2
	v_cndmask_b32_e32 v7, v64, v60, vcc_lo
	s_delay_alu instid0(VALU_DEP_1) | instskip(NEXT) | instid1(VALU_DEP_1)
	v_cndmask_b32_e64 v6, v6, v7, s0
	v_dual_cndmask_b32 v3, v3, v6, s1 :: v_dual_cndmask_b32 v28, v62, v28, vcc_lo
	s_delay_alu instid0(VALU_DEP_1) | instskip(NEXT) | instid1(VALU_DEP_2)
	v_alignbit_b32 v10, v5, v3, v0
	v_cndmask_b32_e64 v7, v7, v28, s0
	v_mul_u64_e32 v[28:29], s[34:35], v[74:75]
	s_delay_alu instid0(VALU_DEP_3) | instskip(SKIP_1) | instid1(VALU_DEP_4)
	v_cndmask_b32_e64 v5, v10, v5, s2
	v_bfe_u32 v12, v4, 29, 1
	v_cndmask_b32_e64 v6, v6, v7, s1
	s_delay_alu instid0(VALU_DEP_3) | instskip(NEXT) | instid1(VALU_DEP_3)
	v_alignbit_b32 v10, v4, v5, 30
	v_sub_nc_u32_e32 v13, 0, v12
	s_delay_alu instid0(VALU_DEP_3) | instskip(NEXT) | instid1(VALU_DEP_2)
	v_alignbit_b32 v0, v3, v6, v0
	v_dual_lshrrev_b32 v11, 29, v4 :: v_dual_bitop2_b32 v10, v10, v13 bitop3:0x14
	s_delay_alu instid0(VALU_DEP_2) | instskip(NEXT) | instid1(VALU_DEP_1)
	v_cndmask_b32_e64 v0, v0, v3, s2
	v_alignbit_b32 v3, v5, v0, 30
	s_delay_alu instid0(VALU_DEP_3) | instskip(SKIP_1) | instid1(VALU_DEP_3)
	v_clz_i32_u32_e32 v5, v10
	v_alignbit_b32 v0, v0, v6, 30
	v_xor_b32_e32 v3, v3, v13
	s_delay_alu instid0(VALU_DEP_3) | instskip(NEXT) | instid1(VALU_DEP_3)
	v_min_u32_e32 v5, 32, v5
	v_xor_b32_e32 v0, v0, v13
	s_delay_alu instid0(VALU_DEP_2) | instskip(NEXT) | instid1(VALU_DEP_1)
	v_dual_mov_b32 v60, v29 :: v_dual_sub_nc_u32 v7, 31, v5
	v_alignbit_b32 v10, v10, v3, v7
	s_delay_alu instid0(VALU_DEP_3) | instskip(NEXT) | instid1(VALU_DEP_3)
	v_alignbit_b32 v0, v3, v0, v7
	v_mad_nc_u64_u32 v[60:61], 0x3c439041, v74, v[60:61]
	s_delay_alu instid0(VALU_DEP_2) | instskip(NEXT) | instid1(VALU_DEP_1)
	v_alignbit_b32 v3, v10, v0, 9
	v_clz_i32_u32_e32 v6, v3
	s_delay_alu instid0(VALU_DEP_3) | instskip(NEXT) | instid1(VALU_DEP_2)
	v_dual_mov_b32 v62, v61 :: v_dual_mul_f32 v61, v16, v19
	v_min_u32_e32 v6, 32, v6
	s_delay_alu instid0(VALU_DEP_2) | instskip(NEXT) | instid1(VALU_DEP_2)
	v_mad_nc_u64_u32 v[62:63], 0xdb629599, v74, v[62:63]
	v_not_b32_e32 v7, v6
	v_add_lshl_u32 v6, v6, v5, 23
	s_delay_alu instid0(VALU_DEP_2) | instskip(NEXT) | instid1(VALU_DEP_4)
	v_alignbit_b32 v0, v3, v0, v7
	v_dual_mov_b32 v64, v63 :: v_dual_lshlrev_b32 v3, 31, v11
	s_delay_alu instid0(VALU_DEP_2) | instskip(NEXT) | instid1(VALU_DEP_2)
	v_dual_mov_b32 v63, v75 :: v_dual_lshrrev_b32 v0, 9, v0
	v_or_b32_e32 v7, 0x33000000, v3
	v_or_b32_e32 v3, 0.5, v3
	s_delay_alu instid0(VALU_DEP_4) | instskip(NEXT) | instid1(VALU_DEP_3)
	v_mad_nc_u64_u32 v[64:65], 0xf534ddc0, v74, v[64:65]
	v_sub_nc_u32_e32 v6, v7, v6
	s_delay_alu instid0(VALU_DEP_1) | instskip(NEXT) | instid1(VALU_DEP_3)
	v_dual_lshrrev_b32 v6, 9, v10 :: v_dual_bitop2_b32 v0, v6, v0 bitop3:0x54
	v_dual_mov_b32 v70, v65 :: v_dual_lshlrev_b32 v5, 23, v5
	v_mov_b32_e32 v65, v75
	s_delay_alu instid0(VALU_DEP_2) | instskip(NEXT) | instid1(VALU_DEP_3)
	v_sub_nc_u32_e32 v3, v3, v5
	v_mad_nc_u64_u32 v[70:71], 0xfc2757d1, v74, v[70:71]
	s_delay_alu instid0(VALU_DEP_2) | instskip(NEXT) | instid1(VALU_DEP_1)
	v_or_b32_e32 v3, v6, v3
	v_dual_mul_f32 v5, 0x3fc90fda, v3 :: v_dual_mov_b32 v72, v71
	v_mov_b32_e32 v71, v75
	s_delay_alu instid0(VALU_DEP_2) | instskip(NEXT) | instid1(VALU_DEP_3)
	v_fma_f32 v6, 0x3fc90fda, v3, -v5
	v_mad_nc_u64_u32 v[72:73], 0x4e441529, v74, v[72:73]
	s_delay_alu instid0(VALU_DEP_2) | instskip(NEXT) | instid1(VALU_DEP_1)
	v_fmac_f32_e32 v6, 0x33a22168, v3
	v_fmac_f32_e32 v6, 0x3fc90fda, v0
	s_delay_alu instid0(VALU_DEP_3) | instskip(NEXT) | instid1(VALU_DEP_2)
	v_dual_lshrrev_b32 v0, 30, v4 :: v_dual_mov_b32 v88, v73
	v_dual_mov_b32 v73, v75 :: v_dual_add_f32 v97, v5, v6
	s_delay_alu instid0(VALU_DEP_2) | instskip(SKIP_1) | instid1(VALU_DEP_1)
	v_add_nc_u32_e32 v98, v12, v0
	v_mul_f32_e64 v0, 0x3f22f983, |v93|
	v_rndne_f32_e32 v0, v0
	s_delay_alu instid0(VALU_DEP_1) | instskip(SKIP_1) | instid1(VALU_DEP_2)
	v_fma_f32 v99, 0xbfc90fda, v0, |v93|
	v_cvt_i32_f32_e32 v100, v0
	v_fmac_f32_e32 v99, 0xb3a22168, v0
	s_delay_alu instid0(VALU_DEP_1) | instskip(SKIP_1) | instid1(VALU_DEP_1)
	v_fmac_f32_e32 v99, 0xa7c234c4, v0
	v_lshrrev_b32_e32 v0, 23, v36
	v_add_nc_u32_e32 v0, 0xffffff88, v0
	s_delay_alu instid0(VALU_DEP_1) | instskip(SKIP_2) | instid1(VALU_DEP_2)
	v_cmp_lt_u32_e32 vcc_lo, 63, v0
	v_mov_b32_e32 v89, v75
	v_cndmask_b32_e64 v3, 0, 0xffffffc0, vcc_lo
	v_mad_nc_u64_u32 v[88:89], 0xa2f9836e, v74, v[88:89]
	s_delay_alu instid0(VALU_DEP_2) | instskip(NEXT) | instid1(VALU_DEP_1)
	v_add_nc_u32_e32 v0, v3, v0
	v_cmp_lt_u32_e64 s0, 31, v0
	s_delay_alu instid0(VALU_DEP_3) | instskip(SKIP_1) | instid1(VALU_DEP_3)
	v_dual_cndmask_b32 v4, v88, v70, vcc_lo :: v_dual_cndmask_b32 v6, v89, v72, vcc_lo
	v_mov_b32_e32 v89, v75
	v_cndmask_b32_e64 v3, 0, 0xffffffe0, s0
	s_delay_alu instid0(VALU_DEP_1) | instskip(NEXT) | instid1(VALU_DEP_1)
	v_add_nc_u32_e32 v0, v3, v0
	v_cmp_lt_u32_e64 s1, 31, v0
	s_delay_alu instid0(VALU_DEP_1) | instskip(NEXT) | instid1(VALU_DEP_1)
	v_cndmask_b32_e64 v3, 0, 0xffffffe0, s1
	v_add_nc_u32_e32 v0, v3, v0
	v_cndmask_b32_e32 v3, v72, v64, vcc_lo
	s_delay_alu instid0(VALU_DEP_2) | instskip(NEXT) | instid1(VALU_DEP_2)
	v_cmp_eq_u32_e64 s2, 0, v0
	v_dual_cndmask_b32 v5, v4, v3, s0 :: v_dual_cndmask_b32 v4, v6, v4, s0
	v_dual_cndmask_b32 v6, v70, v62, vcc_lo :: v_dual_sub_nc_u32 v0, 32, v0
	s_delay_alu instid0(VALU_DEP_1) | instskip(NEXT) | instid1(VALU_DEP_1)
	v_dual_cndmask_b32 v3, v3, v6, s0 :: v_dual_cndmask_b32 v4, v4, v5, s1
	v_cndmask_b32_e64 v5, v5, v3, s1
	s_delay_alu instid0(VALU_DEP_1) | instskip(NEXT) | instid1(VALU_DEP_1)
	v_alignbit_b32 v7, v4, v5, v0
	v_cndmask_b32_e64 v125, v7, v4, s2
	v_cndmask_b32_e32 v4, v64, v60, vcc_lo
	v_and_b32_e32 v60, 0x7fffffff, v58
	s_delay_alu instid0(VALU_DEP_2) | instskip(NEXT) | instid1(VALU_DEP_2)
	v_cndmask_b32_e64 v6, v6, v4, s0
	v_and_or_b32 v74, v60, s33, 0x800000
	s_delay_alu instid0(VALU_DEP_2) | instskip(NEXT) | instid1(VALU_DEP_1)
	v_cndmask_b32_e64 v3, v3, v6, s1
	v_alignbit_b32 v7, v5, v3, v0
	s_delay_alu instid0(VALU_DEP_1) | instskip(NEXT) | instid1(VALU_DEP_4)
	v_dual_cndmask_b32 v124, v7, v5, s2 :: v_dual_cndmask_b32 v5, v62, v28, vcc_lo
	v_mul_u64_e32 v[28:29], s[34:35], v[74:75]
	s_delay_alu instid0(VALU_DEP_2) | instskip(NEXT) | instid1(VALU_DEP_1)
	v_cndmask_b32_e64 v4, v4, v5, s0
	v_cndmask_b32_e64 v4, v6, v4, s1
	v_cmp_gt_f32_e64 s1, 0x48000000, |v58|
	s_delay_alu instid0(VALU_DEP_2) | instskip(NEXT) | instid1(VALU_DEP_1)
	v_alignbit_b32 v0, v3, v4, v0
	v_dual_cndmask_b32 v126, v0, v3, s2 :: v_dual_lshrrev_b32 v0, 23, v60
	s_delay_alu instid0(VALU_DEP_1) | instskip(NEXT) | instid1(VALU_DEP_2)
	v_alignbit_b32 v123, v126, v4, 30
	v_add_nc_u32_e32 v0, 0xffffff88, v0
	s_delay_alu instid0(VALU_DEP_1) | instskip(SKIP_3) | instid1(VALU_DEP_3)
	v_cmp_lt_u32_e32 vcc_lo, 63, v0
	v_dual_mov_b32 v62, v29 :: v_dual_mov_b32 v29, v75
	v_cndmask_b32_e64 v3, 0, 0xffffffc0, vcc_lo
	v_lshrrev_b32_e32 v122, 30, v125
	v_mad_nc_u64_u32 v[62:63], 0x3c439041, v74, v[62:63]
	s_delay_alu instid0(VALU_DEP_3) | instskip(NEXT) | instid1(VALU_DEP_1)
	v_add_nc_u32_e32 v0, v3, v0
	v_cmp_lt_u32_e64 s0, 31, v0
	s_delay_alu instid0(VALU_DEP_3) | instskip(NEXT) | instid1(VALU_DEP_2)
	v_mov_b32_e32 v64, v63
	v_cndmask_b32_e64 v3, 0, 0xffffffe0, s0
	s_delay_alu instid0(VALU_DEP_2) | instskip(NEXT) | instid1(VALU_DEP_2)
	v_mad_nc_u64_u32 v[64:65], 0xdb629599, v74, v[64:65]
	v_add_nc_u32_e32 v0, v3, v0
	s_delay_alu instid0(VALU_DEP_1) | instskip(NEXT) | instid1(VALU_DEP_3)
	v_cmp_lt_u32_e64 s2, 31, v0
	v_mov_b32_e32 v70, v65
	s_delay_alu instid0(VALU_DEP_2) | instskip(SKIP_1) | instid1(VALU_DEP_3)
	v_cndmask_b32_e64 v3, 0, 0xffffffe0, s2
	v_cndmask_b32_e32 v28, v64, v28, vcc_lo
	v_mad_nc_u64_u32 v[70:71], 0xf534ddc0, v74, v[70:71]
	s_delay_alu instid0(VALU_DEP_3) | instskip(NEXT) | instid1(VALU_DEP_1)
	v_add_nc_u32_e32 v0, v3, v0
	v_cmp_eq_u32_e64 s3, 0, v0
	s_delay_alu instid0(VALU_DEP_3) | instskip(NEXT) | instid1(VALU_DEP_1)
	v_mov_b32_e32 v72, v71
	v_mad_nc_u64_u32 v[72:73], 0xfc2757d1, v74, v[72:73]
	s_delay_alu instid0(VALU_DEP_1) | instskip(SKIP_1) | instid1(VALU_DEP_2)
	v_dual_mov_b32 v7, v75 :: v_dual_mov_b32 v88, v73
	v_mov_b32_e32 v73, v75
	v_mad_nc_u64_u32 v[88:89], 0x4e441529, v74, v[88:89]
	s_delay_alu instid0(VALU_DEP_1) | instskip(SKIP_1) | instid1(VALU_DEP_2)
	v_dual_cndmask_b32 v3, v88, v70 :: v_dual_mov_b32 v6, v89
	v_mov_b32_e32 v89, v75
	v_mad_nc_u64_u32 v[6:7], 0xa2f9836e, v74, v[6:7]
	s_delay_alu instid0(VALU_DEP_1) | instskip(NEXT) | instid1(VALU_DEP_1)
	v_cndmask_b32_e32 v4, v6, v72, vcc_lo
	v_dual_cndmask_b32 v6, v7, v88, vcc_lo :: v_dual_cndmask_b32 v5, v4, v3, s0
	s_delay_alu instid0(VALU_DEP_1) | instskip(SKIP_1) | instid1(VALU_DEP_1)
	v_cndmask_b32_e64 v4, v6, v4, s0
	v_cndmask_b32_e32 v6, v72, v64, vcc_lo
	v_dual_sub_nc_u32 v0, 32, v0 :: v_dual_cndmask_b32 v3, v3, v6, s0
	s_delay_alu instid0(VALU_DEP_1) | instskip(NEXT) | instid1(VALU_DEP_1)
	v_dual_cndmask_b32 v4, v4, v5, s2 :: v_dual_cndmask_b32 v5, v5, v3, s2
	v_alignbit_b32 v7, v4, v5, v0
	s_delay_alu instid0(VALU_DEP_1) | instskip(SKIP_1) | instid1(VALU_DEP_2)
	v_dual_cndmask_b32 v4, v7, v4, s3 :: v_dual_cndmask_b32 v7, v70, v62, vcc_lo
	v_and_b32_e32 v62, 0x7fffffff, v61
	v_dual_cndmask_b32 v6, v6, v7, s0 :: v_dual_cndmask_b32 v7, v7, v28, s0
	s_delay_alu instid0(VALU_DEP_2) | instskip(NEXT) | instid1(VALU_DEP_2)
	v_and_or_b32 v74, v62, s33, 0x800000
	v_dual_cndmask_b32 v3, v3, v6, s2 :: v_dual_cndmask_b32 v6, v6, v7, s2
	v_cmp_class_f32_e64 s2, v58, 0x1f8
	s_delay_alu instid0(VALU_DEP_2) | instskip(NEXT) | instid1(VALU_DEP_1)
	v_alignbit_b32 v10, v5, v3, v0
	v_cndmask_b32_e64 v5, v10, v5, s3
	v_bfe_u32 v12, v4, 29, 1
	v_lshrrev_b32_e32 v11, 29, v4
	v_alignbit_b32 v0, v3, v6, v0
	s_delay_alu instid0(VALU_DEP_4) | instskip(NEXT) | instid1(VALU_DEP_2)
	v_alignbit_b32 v10, v4, v5, 30
	v_dual_sub_nc_u32 v13, 0, v12 :: v_dual_cndmask_b32 v0, v0, v3, s3
	s_delay_alu instid0(VALU_DEP_1) | instskip(NEXT) | instid1(VALU_DEP_2)
	v_xor_b32_e32 v10, v10, v13
	v_alignbit_b32 v3, v5, v0, 30
	v_alignbit_b32 v0, v0, v6, 30
	s_delay_alu instid0(VALU_DEP_3) | instskip(NEXT) | instid1(VALU_DEP_3)
	v_clz_i32_u32_e32 v5, v10
	v_xor_b32_e32 v3, v3, v13
	s_delay_alu instid0(VALU_DEP_3) | instskip(NEXT) | instid1(VALU_DEP_3)
	v_xor_b32_e32 v0, v0, v13
	v_min_u32_e32 v5, 32, v5
	s_delay_alu instid0(VALU_DEP_1) | instskip(NEXT) | instid1(VALU_DEP_1)
	v_sub_nc_u32_e32 v7, 31, v5
	v_alignbit_b32 v10, v10, v3, v7
	s_delay_alu instid0(VALU_DEP_4) | instskip(NEXT) | instid1(VALU_DEP_1)
	v_alignbit_b32 v0, v3, v0, v7
	v_alignbit_b32 v3, v10, v0, 9
	s_delay_alu instid0(VALU_DEP_1) | instskip(NEXT) | instid1(VALU_DEP_1)
	v_clz_i32_u32_e32 v6, v3
	v_min_u32_e32 v6, 32, v6
	s_delay_alu instid0(VALU_DEP_1) | instskip(SKIP_2) | instid1(VALU_DEP_3)
	v_not_b32_e32 v7, v6
	v_add_lshl_u32 v6, v6, v5, 23
	v_lshlrev_b32_e32 v5, 23, v5
	v_alignbit_b32 v0, v3, v0, v7
	s_delay_alu instid0(VALU_DEP_1) | instskip(NEXT) | instid1(VALU_DEP_1)
	v_dual_lshlrev_b32 v3, 31, v11 :: v_dual_lshrrev_b32 v0, 9, v0
	v_or_b32_e32 v7, 0x33000000, v3
	s_delay_alu instid0(VALU_DEP_1) | instskip(NEXT) | instid1(VALU_DEP_1)
	v_dual_sub_nc_u32 v6, v7, v6 :: v_dual_bitop2_b32 v3, 0.5, v3 bitop3:0x54
	v_dual_lshrrev_b32 v6, 9, v10 :: v_dual_bitop2_b32 v0, v6, v0 bitop3:0x54
	s_delay_alu instid0(VALU_DEP_2) | instskip(NEXT) | instid1(VALU_DEP_1)
	v_sub_nc_u32_e32 v3, v3, v5
	v_or_b32_e32 v3, v6, v3
	s_delay_alu instid0(VALU_DEP_1) | instskip(NEXT) | instid1(VALU_DEP_1)
	v_mul_f32_e32 v5, 0x3fc90fda, v3
	v_fma_f32 v6, 0x3fc90fda, v3, -v5
	s_delay_alu instid0(VALU_DEP_1) | instskip(NEXT) | instid1(VALU_DEP_1)
	v_fmac_f32_e32 v6, 0x33a22168, v3
	v_fmac_f32_e32 v6, 0x3fc90fda, v0
	s_delay_alu instid0(VALU_DEP_1) | instskip(SKIP_1) | instid1(VALU_DEP_2)
	v_dual_add_f32 v63, v5, v6 :: v_dual_lshrrev_b32 v0, 30, v4
	v_mul_u64_e32 v[6:7], s[34:35], v[74:75]
	v_add_nc_u32_e32 v64, v12, v0
	v_mul_f32_e64 v0, 0x3f22f983, |v58|
	v_mov_b32_e32 v5, v75
	s_delay_alu instid0(VALU_DEP_2) | instskip(NEXT) | instid1(VALU_DEP_1)
	v_rndne_f32_e32 v0, v0
	v_fma_f32 v65, 0xbfc90fda, v0, |v58|
	v_cvt_i32_f32_e32 v70, v0
	s_delay_alu instid0(VALU_DEP_2) | instskip(NEXT) | instid1(VALU_DEP_1)
	v_fmac_f32_e32 v65, 0xb3a22168, v0
	v_dual_fmac_f32 v65, 0xa7c234c4, v0 :: v_dual_lshrrev_b32 v0, 23, v62
	s_delay_alu instid0(VALU_DEP_1) | instskip(SKIP_2) | instid1(VALU_DEP_3)
	v_add_nc_u32_e32 v0, 0xffffff88, v0
	v_cmp_gt_f32_e64 s3, 0x48000000, |v61|
	v_mov_b32_e32 v28, v7
	v_cmp_lt_u32_e32 vcc_lo, 63, v0
	s_delay_alu instid0(VALU_DEP_2) | instskip(SKIP_1) | instid1(VALU_DEP_1)
	v_mad_nc_u64_u32 v[28:29], 0x3c439041, v74, v[28:29]
	v_cndmask_b32_e64 v3, 0, 0xffffffc0, vcc_lo
	v_dual_add_nc_u32 v0, v3, v0 :: v_dual_mov_b32 v72, v29
	s_delay_alu instid0(VALU_DEP_1) | instskip(NEXT) | instid1(VALU_DEP_2)
	v_cmp_lt_u32_e64 s0, 31, v0
	v_mad_nc_u64_u32 v[72:73], 0xdb629599, v74, v[72:73]
	s_delay_alu instid0(VALU_DEP_2) | instskip(NEXT) | instid1(VALU_DEP_1)
	v_cndmask_b32_e64 v3, 0, 0xffffffe0, s0
	v_dual_add_nc_u32 v0, v3, v0 :: v_dual_mov_b32 v88, v73
	s_delay_alu instid0(VALU_DEP_1) | instskip(NEXT) | instid1(VALU_DEP_4)
	v_cmp_lt_u32_e64 s4, 31, v0
	v_cndmask_b32_e32 v6, v72, v6, vcc_lo
	s_delay_alu instid0(VALU_DEP_3) | instskip(NEXT) | instid1(VALU_DEP_3)
	v_mad_nc_u64_u32 v[88:89], 0xf534ddc0, v74, v[88:89]
	v_cndmask_b32_e64 v3, 0, 0xffffffe0, s4
	s_delay_alu instid0(VALU_DEP_1) | instskip(NEXT) | instid1(VALU_DEP_1)
	v_dual_add_nc_u32 v0, v3, v0 :: v_dual_mov_b32 v4, v89
	v_cmp_eq_u32_e64 s5, 0, v0
	v_dual_mov_b32 v89, v75 :: v_dual_sub_nc_u32 v0, 32, v0
	s_delay_alu instid0(VALU_DEP_3) | instskip(NEXT) | instid1(VALU_DEP_1)
	v_mad_nc_u64_u32 v[4:5], 0xfc2757d1, v74, v[4:5]
	v_dual_mov_b32 v13, v75 :: v_dual_mov_b32 v78, v5
	s_delay_alu instid0(VALU_DEP_1) | instskip(NEXT) | instid1(VALU_DEP_1)
	v_mad_nc_u64_u32 v[78:79], 0x4e441529, v74, v[78:79]
	v_dual_cndmask_b32 v3, v78, v88 :: v_dual_mov_b32 v12, v79
	v_mov_b32_e32 v79, v75
	s_delay_alu instid0(VALU_DEP_2) | instskip(NEXT) | instid1(VALU_DEP_1)
	v_mad_nc_u64_u32 v[12:13], 0xa2f9836e, v74, v[12:13]
	v_dual_cndmask_b32 v5, v12, v4 :: v_dual_cndmask_b32 v10, v13, v78
	s_delay_alu instid0(VALU_DEP_1) | instskip(NEXT) | instid1(VALU_DEP_1)
	v_dual_cndmask_b32 v4, v4, v72, vcc_lo :: v_dual_cndmask_b32 v7, v5, v3, s0
	v_dual_cndmask_b32 v5, v10, v5, s0 :: v_dual_cndmask_b32 v3, v3, v4, s0
	s_delay_alu instid0(VALU_DEP_1) | instskip(NEXT) | instid1(VALU_DEP_2)
	v_cndmask_b32_e64 v5, v5, v7, s4
	v_cndmask_b32_e64 v7, v7, v3, s4
	s_delay_alu instid0(VALU_DEP_1) | instskip(NEXT) | instid1(VALU_DEP_1)
	v_alignbit_b32 v10, v5, v7, v0
	v_dual_cndmask_b32 v5, v10, v5, s5 :: v_dual_cndmask_b32 v10, v88, v28, vcc_lo
	s_delay_alu instid0(VALU_DEP_1) | instskip(SKIP_1) | instid1(VALU_DEP_2)
	v_dual_lshrrev_b32 v12, 29, v5 :: v_dual_cndmask_b32 v4, v4, v10, s0
	v_bfe_u32 v13, v5, 29, 1
	v_dual_cndmask_b32 v6, v10, v6, s0 :: v_dual_cndmask_b32 v3, v3, v4, s4
	s_delay_alu instid0(VALU_DEP_2) | instskip(NEXT) | instid1(VALU_DEP_2)
	v_sub_nc_u32_e32 v28, 0, v13
	v_alignbit_b32 v11, v7, v3, v0
	s_delay_alu instid0(VALU_DEP_1) | instskip(SKIP_1) | instid1(VALU_DEP_2)
	v_dual_cndmask_b32 v7, v11, v7, s5 :: v_dual_cndmask_b32 v4, v4, v6, s4
	v_cmp_class_f32_e64 s4, v61, 0x1f8
	v_alignbit_b32 v11, v5, v7, 30
	s_delay_alu instid0(VALU_DEP_3) | instskip(NEXT) | instid1(VALU_DEP_2)
	v_alignbit_b32 v0, v3, v4, v0
	v_xor_b32_e32 v11, v11, v28
	s_delay_alu instid0(VALU_DEP_1) | instskip(NEXT) | instid1(VALU_DEP_1)
	v_clz_i32_u32_e32 v6, v11
	v_min_u32_e32 v6, 32, v6
	s_delay_alu instid0(VALU_DEP_4) | instskip(SKIP_1) | instid1(VALU_DEP_2)
	v_cndmask_b32_e64 v0, v0, v3, s5
	v_cmp_gt_f32_e64 s5, 0x48000000, |v18|
	v_alignbit_b32 v3, v7, v0, 30
	s_delay_alu instid0(VALU_DEP_1) | instskip(SKIP_1) | instid1(VALU_DEP_2)
	v_dual_sub_nc_u32 v7, 31, v6 :: v_dual_bitop2_b32 v3, v3, v28 bitop3:0x14
	v_alignbit_b32 v0, v0, v4, 30
	v_alignbit_b32 v10, v11, v3, v7
	s_delay_alu instid0(VALU_DEP_2) | instskip(NEXT) | instid1(VALU_DEP_1)
	v_dual_mov_b32 v11, v75 :: v_dual_bitop2_b32 v0, v0, v28 bitop3:0x14
	v_alignbit_b32 v0, v3, v0, v7
	s_delay_alu instid0(VALU_DEP_1) | instskip(NEXT) | instid1(VALU_DEP_1)
	v_alignbit_b32 v3, v10, v0, 9
	v_clz_i32_u32_e32 v4, v3
	s_delay_alu instid0(VALU_DEP_1) | instskip(NEXT) | instid1(VALU_DEP_1)
	v_min_u32_e32 v4, 32, v4
	v_not_b32_e32 v7, v4
	v_add_lshl_u32 v4, v4, v6, 23
	v_lshlrev_b32_e32 v6, 23, v6
	s_delay_alu instid0(VALU_DEP_3) | instskip(SKIP_1) | instid1(VALU_DEP_2)
	v_alignbit_b32 v0, v3, v0, v7
	v_lshlrev_b32_e32 v3, 31, v12
	v_lshrrev_b32_e32 v0, 9, v0
	s_delay_alu instid0(VALU_DEP_2) | instskip(NEXT) | instid1(VALU_DEP_1)
	v_or_b32_e32 v7, 0x33000000, v3
	v_dual_sub_nc_u32 v4, v7, v4 :: v_dual_bitop2_b32 v3, 0.5, v3 bitop3:0x54
	s_delay_alu instid0(VALU_DEP_1) | instskip(NEXT) | instid1(VALU_DEP_2)
	v_dual_sub_nc_u32 v3, v3, v6 :: v_dual_mov_b32 v7, v14
	v_dual_lshrrev_b32 v4, 9, v10 :: v_dual_bitop2_b32 v0, v4, v0 bitop3:0x54
	s_delay_alu instid0(VALU_DEP_1) | instskip(NEXT) | instid1(VALU_DEP_1)
	v_or_b32_e32 v3, v4, v3
	v_mul_f32_e32 v4, 0x3fc90fda, v3
	s_delay_alu instid0(VALU_DEP_1) | instskip(NEXT) | instid1(VALU_DEP_1)
	v_fma_f32 v6, 0x3fc90fda, v3, -v4
	v_fmac_f32_e32 v6, 0x33a22168, v3
	s_delay_alu instid0(VALU_DEP_1) | instskip(NEXT) | instid1(VALU_DEP_1)
	v_fmac_f32_e32 v6, 0x3fc90fda, v0
	v_dual_add_f32 v71, v4, v6 :: v_dual_lshrrev_b32 v0, 30, v5
	s_delay_alu instid0(VALU_DEP_1) | instskip(SKIP_1) | instid1(VALU_DEP_1)
	v_add_nc_u32_e32 v72, v13, v0
	v_mul_f32_e64 v0, 0x3f22f983, |v61|
	v_rndne_f32_e32 v0, v0
	s_delay_alu instid0(VALU_DEP_1) | instskip(SKIP_1) | instid1(VALU_DEP_2)
	v_fma_f32 v73, 0xbfc90fda, v0, |v61|
	v_cvt_i32_f32_e32 v87, v0
	v_fmac_f32_e32 v73, 0xb3a22168, v0
	s_delay_alu instid0(VALU_DEP_1) | instskip(SKIP_1) | instid1(VALU_DEP_1)
	v_fmac_f32_e32 v73, 0xa7c234c4, v0
	v_div_scale_f32 v0, null, 0x40490fdb, 0x40490fdb, v19
	v_rcp_f32_e32 v3, v0
	v_nop
	s_delay_alu instid0(TRANS32_DEP_1) | instskip(NEXT) | instid1(VALU_DEP_1)
	v_fma_f32 v4, -v0, v3, 1.0
	v_fmac_f32_e32 v3, v4, v3
	v_div_scale_f32 v4, vcc_lo, v19, 0x40490fdb, v19
	s_delay_alu instid0(VALU_DEP_1) | instskip(NEXT) | instid1(VALU_DEP_1)
	v_mul_f32_e32 v5, v4, v3
	v_fma_f32 v6, -v0, v5, v4
	s_delay_alu instid0(VALU_DEP_1) | instskip(NEXT) | instid1(VALU_DEP_1)
	v_dual_fmac_f32 v5, v6, v3 :: v_dual_mov_b32 v6, 2.0
	v_fma_f32 v0, -v0, v5, v4
	s_delay_alu instid0(VALU_DEP_2) | instskip(SKIP_2) | instid1(VALU_DEP_4)
	v_pk_add_f32 v[12:13], v[14:15], v[6:7]
	v_pk_mul_f32 v[28:29], v[14:15], v[6:7] op_sel:[1,0]
	v_mov_b32_e32 v7, v75
	v_div_fmas_f32 v0, v0, v3, v5
	s_delay_alu instid0(VALU_DEP_4) | instskip(SKIP_1) | instid1(VALU_DEP_3)
	v_dual_mov_b32 v3, v14 :: v_dual_mov_b32 v29, v13
	v_mov_b32_e32 v13, v75
	v_div_fixup_f32 v0, v0, 0x40490fdb, v19
	s_delay_alu instid0(VALU_DEP_3) | instskip(SKIP_2) | instid1(VALU_DEP_2)
	v_pk_add_f32 v[4:5], v[14:15], v[2:3] neg_lo:[0,1] neg_hi:[0,1]
	v_mov_b32_e32 v4, v14
	v_and_b32_e32 v3, 0x7fffffff, v18
	v_pk_mul_f32 v[4:5], v[4:5], v[28:29]
	s_delay_alu instid0(VALU_DEP_2) | instskip(NEXT) | instid1(VALU_DEP_2)
	v_and_or_b32 v74, v3, s33, 0x800000
	v_pk_mul_f32 v[30:31], v[4:5], v[30:31] op_sel_hi:[1,0]
	v_lshrrev_b32_e32 v4, 23, v3
	s_delay_alu instid0(VALU_DEP_1) | instskip(NEXT) | instid1(VALU_DEP_1)
	v_add_nc_u32_e32 v4, 0xffffff88, v4
	v_cmp_lt_u32_e32 vcc_lo, 63, v4
	v_cndmask_b32_e64 v5, 0, 0xffffffc0, vcc_lo
	s_delay_alu instid0(VALU_DEP_1) | instskip(NEXT) | instid1(VALU_DEP_1)
	v_add_nc_u32_e32 v4, v5, v4
	v_cmp_lt_u32_e64 s0, 31, v4
	s_delay_alu instid0(VALU_DEP_1) | instskip(NEXT) | instid1(VALU_DEP_1)
	v_cndmask_b32_e64 v5, 0, 0xffffffe0, s0
	v_add_nc_u32_e32 v4, v5, v4
	s_delay_alu instid0(VALU_DEP_1) | instskip(NEXT) | instid1(VALU_DEP_1)
	v_cmp_lt_u32_e64 s23, 31, v4
	v_cndmask_b32_e64 v5, 0, 0xffffffe0, s23
	s_delay_alu instid0(VALU_DEP_1) | instskip(SKIP_1) | instid1(VALU_DEP_2)
	v_add_nc_u32_e32 v29, v5, v4
	v_mul_u64_e32 v[4:5], s[34:35], v[74:75]
	v_cmp_eq_u32_e64 s24, 0, v29
	s_delay_alu instid0(VALU_DEP_2) | instskip(NEXT) | instid1(VALU_DEP_1)
	v_mov_b32_e32 v6, v5
	v_mad_nc_u64_u32 v[6:7], 0x3c439041, v74, v[6:7]
	s_delay_alu instid0(VALU_DEP_1) | instskip(NEXT) | instid1(VALU_DEP_1)
	v_mov_b32_e32 v12, v7
	v_mad_nc_u64_u32 v[12:13], 0xdb629599, v74, v[12:13]
	s_delay_alu instid0(VALU_DEP_1) | instskip(NEXT) | instid1(VALU_DEP_2)
	v_dual_mov_b32 v78, v13 :: v_dual_sub_nc_u32 v13, 32, v29
	v_cndmask_b32_e32 v4, v12, v4, vcc_lo
	s_delay_alu instid0(VALU_DEP_2) | instskip(NEXT) | instid1(VALU_DEP_1)
	v_mad_nc_u64_u32 v[78:79], 0xf534ddc0, v74, v[78:79]
	v_dual_mov_b32 v88, v79 :: v_dual_cndmask_b32 v6, v78, v6, vcc_lo
	s_delay_alu instid0(VALU_DEP_1) | instskip(NEXT) | instid1(VALU_DEP_1)
	v_mad_nc_u64_u32 v[88:89], 0xfc2757d1, v74, v[88:89]
	v_mov_b32_e32 v76, v89
	s_delay_alu instid0(VALU_DEP_1) | instskip(NEXT) | instid1(VALU_DEP_1)
	v_mad_nc_u64_u32 v[76:77], 0x4e441529, v74, v[76:77]
	v_dual_cndmask_b32 v5, v76, v78 :: v_dual_mov_b32 v10, v77
	s_delay_alu instid0(VALU_DEP_1) | instskip(NEXT) | instid1(VALU_DEP_1)
	v_mad_nc_u64_u32 v[10:11], 0xa2f9836e, v74, v[10:11]
	v_cndmask_b32_e32 v7, v10, v88, vcc_lo
	s_delay_alu instid0(VALU_DEP_1) | instskip(NEXT) | instid1(VALU_DEP_3)
	v_cndmask_b32_e64 v10, v7, v5, s0
	v_cndmask_b32_e32 v11, v11, v76, vcc_lo
	s_delay_alu instid0(VALU_DEP_1) | instskip(NEXT) | instid1(VALU_DEP_1)
	v_dual_cndmask_b32 v7, v11, v7, s0 :: v_dual_cndmask_b32 v11, v88, v12, vcc_lo
	v_dual_cndmask_b32 v5, v5, v11, s0 :: v_dual_cndmask_b32 v11, v11, v6, s0
	s_delay_alu instid0(VALU_DEP_1) | instskip(NEXT) | instid1(VALU_DEP_2)
	v_dual_cndmask_b32 v7, v7, v10, s23 :: v_dual_cndmask_b32 v10, v10, v5, s23
	v_cndmask_b32_e64 v5, v5, v11, s23
	s_delay_alu instid0(VALU_DEP_2) | instskip(NEXT) | instid1(VALU_DEP_1)
	v_alignbit_b32 v29, v7, v10, v13
	v_cndmask_b32_e64 v7, v29, v7, s24
	s_delay_alu instid0(VALU_DEP_3) | instskip(NEXT) | instid1(VALU_DEP_1)
	v_alignbit_b32 v29, v10, v5, v13
	v_cndmask_b32_e64 v10, v29, v10, s24
	s_delay_alu instid0(VALU_DEP_3) | instskip(SKIP_2) | instid1(VALU_DEP_4)
	v_bfe_u32 v74, v7, 29, 1
	v_dual_lshrrev_b32 v33, 29, v7 :: v_dual_cndmask_b32 v4, v6, v4, s0
	v_cmp_class_f32_e64 s0, v18, 0x1f8
	v_alignbit_b32 v29, v7, v10, 30
	s_delay_alu instid0(VALU_DEP_4) | instskip(NEXT) | instid1(VALU_DEP_1)
	v_sub_nc_u32_e32 v76, 0, v74
	v_xor_b32_e32 v29, v29, v76
	v_cndmask_b32_e64 v4, v11, v4, s23
	s_mov_b32 s23, 0x3c971480
	s_delay_alu instid0(VALU_DEP_1) | instskip(SKIP_1) | instid1(VALU_DEP_2)
	v_alignbit_b32 v6, v5, v4, v13
	v_lshlrev_b32_e32 v13, 30, v81
	v_cndmask_b32_e64 v5, v6, v5, s24
	s_mov_b32 s24, 0xbf000004
	s_delay_alu instid0(VALU_DEP_2) | instskip(NEXT) | instid1(VALU_DEP_2)
	v_and_b32_e32 v13, 0x80000000, v13
	v_alignbit_b32 v6, v10, v5, 30
	v_clz_i32_u32_e32 v10, v29
	s_delay_alu instid0(VALU_DEP_2) | instskip(NEXT) | instid1(VALU_DEP_2)
	v_xor_b32_e32 v6, v6, v76
	v_min_u32_e32 v10, 32, v10
	s_delay_alu instid0(VALU_DEP_1) | instskip(SKIP_1) | instid1(VALU_DEP_2)
	v_sub_nc_u32_e32 v11, 31, v10
	v_alignbit_b32 v4, v5, v4, 30
	v_alignbit_b32 v12, v29, v6, v11
	s_delay_alu instid0(VALU_DEP_2) | instskip(NEXT) | instid1(VALU_DEP_1)
	v_xor_b32_e32 v4, v4, v76
	v_alignbit_b32 v4, v6, v4, v11
	s_delay_alu instid0(VALU_DEP_1) | instskip(NEXT) | instid1(VALU_DEP_1)
	v_alignbit_b32 v5, v12, v4, 9
	v_clz_i32_u32_e32 v6, v5
	s_delay_alu instid0(VALU_DEP_1) | instskip(NEXT) | instid1(VALU_DEP_1)
	v_min_u32_e32 v6, 32, v6
	v_not_b32_e32 v11, v6
	v_add_lshl_u32 v6, v6, v10, 23
	v_lshlrev_b32_e32 v10, 23, v10
	s_delay_alu instid0(VALU_DEP_3) | instskip(SKIP_1) | instid1(VALU_DEP_2)
	v_alignbit_b32 v4, v5, v4, v11
	v_dual_lshlrev_b32 v5, 31, v33 :: v_dual_lshlrev_b32 v33, 30, v51
	v_lshrrev_b32_e32 v4, 9, v4
	s_delay_alu instid0(VALU_DEP_2) | instskip(SKIP_1) | instid1(VALU_DEP_4)
	v_or_b32_e32 v11, 0x33000000, v5
	v_or_b32_e32 v5, 0.5, v5
	v_and_b32_e32 v33, 0x80000000, v33
	s_delay_alu instid0(VALU_DEP_3) | instskip(NEXT) | instid1(VALU_DEP_1)
	v_sub_nc_u32_e32 v6, v11, v6
	v_dual_sub_nc_u32 v5, v5, v10 :: v_dual_bitop2_b32 v4, v6, v4 bitop3:0x54
	v_lshrrev_b32_e32 v6, 9, v12
	s_delay_alu instid0(VALU_DEP_1) | instskip(NEXT) | instid1(VALU_DEP_1)
	v_or_b32_e32 v5, v6, v5
	v_mul_f32_e32 v6, 0x3fc90fda, v5
	s_delay_alu instid0(VALU_DEP_1) | instskip(NEXT) | instid1(VALU_DEP_1)
	v_fma_f32 v10, 0x3fc90fda, v5, -v6
	v_fmac_f32_e32 v10, 0x33a22168, v5
	s_delay_alu instid0(VALU_DEP_1) | instskip(NEXT) | instid1(VALU_DEP_1)
	v_fmac_f32_e32 v10, 0x3fc90fda, v4
	v_dual_add_f32 v29, v6, v10 :: v_dual_lshrrev_b32 v4, 30, v7
	s_delay_alu instid0(VALU_DEP_1) | instskip(SKIP_2) | instid1(VALU_DEP_2)
	v_add_nc_u32_e32 v88, v74, v4
	v_mul_f32_e64 v4, 0x3f22f983, |v18|
	v_alignbit_b32 v74, v107, v110, 30
	v_rndne_f32_e32 v4, v4
	s_delay_alu instid0(VALU_DEP_1) | instskip(SKIP_1) | instid1(VALU_DEP_2)
	v_fma_f32 v89, 0xbfc90fda, v4, |v18|
	v_cvt_i32_f32_e32 v90, v4
	v_fmac_f32_e32 v89, 0xb3a22168, v4
	s_delay_alu instid0(VALU_DEP_1) | instskip(SKIP_1) | instid1(VALU_DEP_1)
	v_fmac_f32_e32 v89, 0xa7c234c4, v4
	v_div_scale_f32 v4, null, v18, v18, v14
	v_rcp_f32_e32 v5, v4
	v_nop
	s_delay_alu instid0(TRANS32_DEP_1) | instskip(NEXT) | instid1(VALU_DEP_1)
	v_fma_f32 v6, -v4, v5, 1.0
	v_fmac_f32_e32 v5, v6, v5
	v_div_scale_f32 v6, vcc_lo, v14, v18, v14
	s_delay_alu instid0(VALU_DEP_1) | instskip(NEXT) | instid1(VALU_DEP_1)
	v_mul_f32_e32 v7, v6, v5
	v_fma_f32 v10, -v4, v7, v6
	s_delay_alu instid0(VALU_DEP_1) | instskip(NEXT) | instid1(VALU_DEP_1)
	v_fmac_f32_e32 v7, v10, v5
	v_fma_f32 v4, -v4, v7, v6
	s_delay_alu instid0(VALU_DEP_1) | instskip(NEXT) | instid1(VALU_DEP_1)
	v_div_fmas_f32 v4, v4, v5, v7
	v_div_fixup_f32 v7, v4, v18, v14
	v_div_scale_f32 v4, null, v18, v18, v15
	s_delay_alu instid0(VALU_DEP_1) | instskip(SKIP_1) | instid1(TRANS32_DEP_1)
	v_rcp_f32_e32 v5, v4
	v_nop
	v_fma_f32 v6, -v4, v5, 1.0
	s_delay_alu instid0(VALU_DEP_1) | instskip(SKIP_1) | instid1(VALU_DEP_1)
	v_fmac_f32_e32 v5, v6, v5
	v_div_scale_f32 v6, vcc_lo, v15, v18, v15
	v_mul_f32_e32 v10, v6, v5
	s_delay_alu instid0(VALU_DEP_1) | instskip(NEXT) | instid1(VALU_DEP_1)
	v_fma_f32 v11, -v4, v10, v6
	v_fmac_f32_e32 v10, v11, v5
	s_delay_alu instid0(VALU_DEP_1) | instskip(NEXT) | instid1(VALU_DEP_1)
	v_fma_f32 v4, -v4, v10, v6
	v_div_fmas_f32 v4, v4, v5, v10
	v_cndmask_b32_e64 v5, v82, v83, s15
	s_delay_alu instid0(VALU_DEP_2) | instskip(NEXT) | instid1(VALU_DEP_2)
	v_div_fixup_f32 v4, v4, v18, v15
	v_mul_f32_e32 v6, v5, v5
	s_delay_alu instid0(VALU_DEP_1) | instskip(NEXT) | instid1(VALU_DEP_1)
	v_fmaak_f32 v10, s36, v6, 0x3c0881c4
	v_fmaak_f32 v10, v6, v10, 0xbe2aaa9d
	s_delay_alu instid0(VALU_DEP_1) | instskip(NEXT) | instid1(VALU_DEP_1)
	v_mul_f32_e32 v10, v6, v10
	v_fma_f32 v10, v5, v10, v5
	v_fmaak_f32 v11, s38, v6, 0xbab64f3b
	s_delay_alu instid0(VALU_DEP_1) | instskip(NEXT) | instid1(VALU_DEP_1)
	v_fmaak_f32 v11, v6, v11, 0x3d2aabf7
	v_fmaak_f32 v11, v6, v11, 0xbf000004
	s_delay_alu instid0(VALU_DEP_1) | instskip(SKIP_2) | instid1(VALU_DEP_2)
	v_fma_f32 v11, v6, v11, 1.0
	v_and_b32_e32 v12, 1, v51
	v_alignbit_b32 v51, v124, v126, 30
	v_cmp_eq_u32_e32 vcc_lo, 0, v12
	s_delay_alu instid0(VALU_DEP_4) | instskip(SKIP_2) | instid1(VALU_DEP_3)
	v_dual_cndmask_b32 v12, -v10, v11, vcc_lo :: v_dual_cndmask_b32 v10, v11, v10, vcc_lo
	v_or_b32_e32 v11, v13, v39
	v_xor_b32_e32 v13, v13, v45
	v_xor_b32_e32 v12, v33, v12
	v_or_b32_e32 v33, v33, v32
	s_delay_alu instid0(VALU_DEP_4) | instskip(NEXT) | instid1(VALU_DEP_3)
	v_xor_b32_e32 v11, v11, v15
	v_cndmask_b32_e64 v12, 0x7fc00000, v12, s16
	s_delay_alu instid0(VALU_DEP_2) | instskip(NEXT) | instid1(VALU_DEP_1)
	v_xor_b32_e32 v11, v11, v50
	v_cndmask_b32_e64 v82, 0x7fc00000, v11, s17
	s_delay_alu instid0(VALU_DEP_1) | instskip(SKIP_1) | instid1(VALU_DEP_2)
	v_div_scale_f32 v11, null, v12, v12, v82
	v_xor_b32_e32 v10, v33, v10
	v_rcp_f32_e32 v33, v11
	v_nop
	s_delay_alu instid0(TRANS32_DEP_1) | instskip(NEXT) | instid1(VALU_DEP_1)
	v_fma_f32 v39, -v11, v33, 1.0
	v_fmac_f32_e32 v33, v39, v33
	v_div_scale_f32 v39, vcc_lo, v82, v12, v82
	s_delay_alu instid0(VALU_DEP_1) | instskip(NEXT) | instid1(VALU_DEP_1)
	v_mul_f32_e32 v45, v39, v33
	v_fma_f32 v50, -v11, v45, v39
	s_delay_alu instid0(VALU_DEP_1) | instskip(NEXT) | instid1(VALU_DEP_1)
	v_fmac_f32_e32 v45, v50, v33
	v_dual_fma_f32 v11, -v11, v45, v39 :: v_dual_bitop2_b32 v10, v10, v14 bitop3:0x14
	v_bfe_u32 v39, v125, 29, 1
	s_delay_alu instid0(VALU_DEP_2) | instskip(NEXT) | instid1(VALU_DEP_3)
	v_cndmask_b32_e64 v81, 0x7fc00000, v10, s16
	v_div_fmas_f32 v11, v11, v33, v45
	v_fmaak_f32 v33, s23, v6, 0xbf039337
	s_delay_alu instid0(VALU_DEP_2) | instskip(NEXT) | instid1(VALU_DEP_2)
	v_div_fixup_f32 v83, v11, v12, v82
	v_fmaak_f32 v33, v6, v33, 0x3f93f425
	v_fmaak_f32 v12, s40, v6, 0x3ec54587
	v_cndmask_b32_e64 v11, v84, v44, s15
	v_cmp_gt_f32_e64 s15, 0x48000000, |v85|
	s_delay_alu instid0(VALU_DEP_4) | instskip(SKIP_1) | instid1(TRANS32_DEP_1)
	v_rcp_f32_e32 v33, v33
	v_nop
	v_mul_f32_e32 v12, v12, v33
	s_delay_alu instid0(VALU_DEP_1) | instskip(NEXT) | instid1(VALU_DEP_1)
	v_mul_f32_e32 v6, v6, v12
	v_dual_fma_f32 v12, v6, v5, v5 :: v_dual_bitop2_b32 v11, 1, v11 bitop3:0x40
	s_delay_alu instid0(VALU_DEP_1) | instskip(NEXT) | instid1(VALU_DEP_2)
	v_sub_f32_e32 v33, v12, v5
	v_cmp_eq_u32_e32 vcc_lo, 0, v11
	v_alignbit_b32 v11, v125, v124, 30
	s_delay_alu instid0(VALU_DEP_3) | instskip(SKIP_2) | instid1(TRANS32_DEP_1)
	v_fma_f32 v5, v6, v5, -v33
	v_rcp_f32_e32 v6, v12
	v_nop
	v_fma_f32 v33, v12, -v6, 1.0
	s_delay_alu instid0(VALU_DEP_1) | instskip(SKIP_1) | instid1(VALU_DEP_2)
	v_fma_f32 v5, v5, -v6, v33
	v_cndmask_b32_e64 v33, 0x7fc00000, v13, s17
	v_dual_sub_nc_u32 v13, 0, v39 :: v_dual_fma_f32 v5, v5, -v6, -v6
	v_lshrrev_b32_e32 v6, 29, v109
	s_delay_alu instid0(VALU_DEP_2) | instskip(NEXT) | instid1(VALU_DEP_3)
	v_xor_b32_e32 v11, v11, v13
	v_dual_cndmask_b32 v5, v5, v12, vcc_lo :: v_dual_bitop2_b32 v51, v51, v13 bitop3:0x14
	v_alignbit_b32 v12, v109, v107, 30
	v_cmp_gt_f32_e64 vcc_lo, 0x48000000, |v16|
	v_lshlrev_b32_e32 v6, 31, v6
	s_delay_alu instid0(VALU_DEP_4) | instskip(SKIP_2) | instid1(VALU_DEP_3)
	v_xor3_b32 v5, v14, v5, v32
	v_cndmask_b32_e64 v32, 0x7fc00000, v10, s16
	v_bfe_u32 v10, v109, 29, 1
	v_cndmask_b32_e64 v84, 0x7fc00000, v5, s16
	s_delay_alu instid0(VALU_DEP_2) | instskip(NEXT) | instid1(VALU_DEP_1)
	v_dual_lshrrev_b32 v5, 29, v125 :: v_dual_sub_nc_u32 v44, 0, v10
	v_dual_lshlrev_b32 v5, 31, v5 :: v_dual_bitop2_b32 v12, v12, v44 bitop3:0x14
	v_xor_b32_e32 v50, v111, v44
	s_delay_alu instid0(VALU_DEP_2) | instskip(NEXT) | instid1(VALU_DEP_1)
	v_clz_i32_u32_e32 v45, v12
	v_min_u32_e32 v45, 32, v45
	v_xor_b32_e32 v44, v74, v44
	v_clz_i32_u32_e32 v74, v11
	s_delay_alu instid0(VALU_DEP_3) | instskip(NEXT) | instid1(VALU_DEP_2)
	v_sub_nc_u32_e32 v77, 31, v45
	v_min_u32_e32 v74, 32, v74
	s_delay_alu instid0(VALU_DEP_2) | instskip(NEXT) | instid1(VALU_DEP_2)
	v_alignbit_b32 v78, v12, v44, v77
	v_sub_nc_u32_e32 v76, 31, v74
	v_alignbit_b32 v12, v44, v50, v77
	s_delay_alu instid0(VALU_DEP_2) | instskip(SKIP_1) | instid1(VALU_DEP_3)
	v_alignbit_b32 v79, v11, v51, v76
	v_xor_b32_e32 v11, v123, v13
	v_alignbit_b32 v50, v78, v12, 9
	s_delay_alu instid0(VALU_DEP_2) | instskip(NEXT) | instid1(VALU_DEP_2)
	v_alignbit_b32 v13, v51, v11, v76
	v_clz_i32_u32_e32 v11, v50
	s_delay_alu instid0(VALU_DEP_2) | instskip(NEXT) | instid1(VALU_DEP_2)
	v_alignbit_b32 v44, v79, v13, 9
	v_min_u32_e32 v51, 32, v11
	v_add_nc_u32_e32 v105, v10, v105
	v_mul_f32_e64 v10, 0x3f22f983, |v85|
	s_delay_alu instid0(VALU_DEP_3) | instskip(SKIP_1) | instid1(VALU_DEP_3)
	v_xor_b32_e32 v76, -1, v51
	v_add_lshl_u32 v51, v45, v51, 23
	v_rndne_f32_e32 v11, v10
	v_clz_i32_u32_e32 v10, v44
	v_lshlrev_b32_e32 v45, 23, v45
	v_alignbit_b32 v12, v50, v12, v76
	v_or_b32_e32 v50, 0x33000000, v5
	v_or_b32_e32 v5, 0.5, v5
	v_min_u32_e32 v10, 32, v10
	v_cvt_i32_f32_e32 v107, v11
	s_delay_alu instid0(VALU_DEP_2) | instskip(SKIP_1) | instid1(VALU_DEP_2)
	v_dual_lshrrev_b32 v12, 9, v12 :: v_dual_bitop2_b32 v77, -1, v10 bitop3:0x14
	v_add_lshl_u32 v10, v10, v74, 23
	v_alignbit_b32 v13, v44, v13, v77
	s_delay_alu instid0(VALU_DEP_2) | instskip(NEXT) | instid1(VALU_DEP_2)
	v_sub_nc_u32_e32 v10, v50, v10
	v_dual_lshlrev_b32 v50, 23, v74 :: v_dual_lshrrev_b32 v44, 9, v13
	v_or_b32_e32 v13, 0x33000000, v6
	v_or_b32_e32 v6, 0.5, v6
	s_delay_alu instid0(VALU_DEP_3) | instskip(NEXT) | instid1(VALU_DEP_2)
	v_sub_nc_u32_e32 v5, v5, v50
	v_dual_sub_nc_u32 v13, v13, v51 :: v_dual_sub_nc_u32 v6, v6, v45
	s_delay_alu instid0(VALU_DEP_1) | instskip(SKIP_1) | instid1(VALU_DEP_1)
	v_or_b32_e32 v13, v13, v12
	v_dual_lshrrev_b32 v44, 9, v79 :: v_dual_bitop2_b32 v12, v10, v44 bitop3:0x54
	v_dual_lshrrev_b32 v10, 9, v78 :: v_dual_bitop2_b32 v44, v44, v5 bitop3:0x54
	v_add_nc_u32_e32 v5, v39, v122
	s_delay_alu instid0(VALU_DEP_2) | instskip(SKIP_1) | instid1(VALU_DEP_2)
	v_or_b32_e32 v45, v10, v6
	v_mul_f32_e64 v6, 0x3f22f983, |v16|
	v_pk_mul_f32 v[50:51], v[44:45], s[48:49] op_sel_hi:[1,0]
	s_delay_alu instid0(VALU_DEP_2) | instskip(NEXT) | instid1(VALU_DEP_2)
	v_rndne_f32_e32 v10, v6
	v_pk_fma_f32 v[76:77], v[44:45], s[48:49], v[50:51] op_sel_hi:[1,0,1] neg_lo:[0,0,1] neg_hi:[0,0,1]
	s_delay_alu instid0(VALU_DEP_2) | instskip(NEXT) | instid1(VALU_DEP_2)
	v_cvt_i32_f32_e32 v6, v10
	v_pk_fma_f32 v[44:45], v[44:45], s[50:51], v[76:77] op_sel_hi:[1,0,1]
	s_delay_alu instid0(VALU_DEP_2) | instskip(SKIP_1) | instid1(VALU_DEP_3)
	v_cndmask_b32_e32 v5, v5, v6, vcc_lo
	v_cndmask_b32_e64 v6, v105, v107, s15
	v_pk_fma_f32 v[12:13], v[12:13], s[48:49], v[44:45] op_sel_hi:[1,0,1]
	v_pk_fma_f32 v[44:45], v[10:11], s[46:47], v[36:37] op_sel_hi:[1,0,1]
	s_delay_alu instid0(VALU_DEP_2) | instskip(NEXT) | instid1(VALU_DEP_2)
	v_pk_add_f32 v[12:13], v[50:51], v[12:13]
	v_pk_fma_f32 v[44:45], v[10:11], s[44:45], v[44:45] op_sel_hi:[1,0,1]
	v_and_b32_e32 v50, 1, v5
	v_and_b32_e32 v39, 1, v6
	s_delay_alu instid0(VALU_DEP_3) | instskip(NEXT) | instid1(VALU_DEP_1)
	v_pk_fma_f32 v[44:45], v[10:11], s[42:43], v[44:45] op_sel_hi:[1,0,1]
	v_dual_cndmask_b32 v11, v13, v45, s15 :: v_dual_cndmask_b32 v10, v12, v44, vcc_lo
	s_delay_alu instid0(VALU_DEP_4) | instskip(NEXT) | instid1(VALU_DEP_4)
	v_cmp_eq_u32_e32 vcc_lo, 0, v50
	v_cmp_eq_u32_e64 s15, 0, v39
	s_delay_alu instid0(VALU_DEP_3) | instskip(NEXT) | instid1(VALU_DEP_1)
	v_pk_mul_f32 v[12:13], v[10:11], v[10:11]
	v_pk_fma_f32 v[44:45], v[12:13], s[38:39], s[54:55] op_sel_hi:[1,0,0]
	v_pk_fma_f32 v[50:51], v[12:13], s[36:37], s[56:57] op_sel_hi:[1,0,0]
	s_delay_alu instid0(VALU_DEP_2) | instskip(NEXT) | instid1(VALU_DEP_2)
	v_pk_fma_f32 v[44:45], v[12:13], v[44:45], s[52:53] op_sel_hi:[1,1,0]
	v_pk_fma_f32 v[50:51], v[12:13], v[50:51], s[58:59] op_sel_hi:[1,1,0]
	s_delay_alu instid0(VALU_DEP_2) | instskip(NEXT) | instid1(VALU_DEP_1)
	v_pk_fma_f32 v[44:45], v[12:13], v[44:45], s[24:25] op_sel_hi:[1,1,0]
	v_pk_fma_f32 v[44:45], v[12:13], v[44:45], 1.0 op_sel_hi:[1,1,0]
	s_delay_alu instid0(VALU_DEP_3) | instskip(NEXT) | instid1(VALU_DEP_1)
	v_pk_mul_f32 v[12:13], v[12:13], v[50:51]
	v_pk_fma_f32 v[10:11], v[10:11], v[12:13], v[10:11]
	s_delay_alu instid0(VALU_DEP_1) | instskip(NEXT) | instid1(VALU_DEP_2)
	v_dual_lshlrev_b32 v6, 30, v6 :: v_dual_cndmask_b32 v39, v45, v11, s15
	v_dual_cndmask_b32 v12, -v11, v45, s15 :: v_dual_cndmask_b32 v13, -v10, v44, vcc_lo
	v_dual_cndmask_b32 v10, v44, v10 :: v_dual_lshlrev_b32 v5, 30, v5
	s_delay_alu instid0(VALU_DEP_3) | instskip(NEXT) | instid1(VALU_DEP_4)
	v_xor_b32_e32 v11, v39, v19
	v_and_b32_e32 v6, 0x80000000, v6
	s_delay_alu instid0(VALU_DEP_3) | instskip(NEXT) | instid1(VALU_DEP_4)
	v_and_b32_e32 v5, 0x80000000, v5
	v_xor_b32_e32 v10, v10, v16
	s_delay_alu instid0(VALU_DEP_4) | instskip(NEXT) | instid1(VALU_DEP_3)
	v_xor_b32_e32 v11, v11, v37
	v_xor_b32_e32 v74, v5, v13
	s_delay_alu instid0(VALU_DEP_3) | instskip(NEXT) | instid1(VALU_DEP_1)
	v_xor_b32_e32 v10, v10, v36
	v_dual_cndmask_b32 v5, v113, v114, s18 :: v_dual_bitop2_b32 v85, v10, v5 bitop3:0x14
	v_cndmask_b32_e64 v10, v112, v115, s18
	v_xor_b32_e32 v11, v6, v11
	v_xor_b32_e32 v12, v6, v12
	s_mov_b32 s18, 0x3e76c4e1
	s_delay_alu instid0(VALU_DEP_2) | instskip(SKIP_1) | instid1(VALU_DEP_3)
	v_cndmask_b32_e64 v45, 0x7fc00000, v11, s22
	v_mul_f32_e32 v11, v5, v5
	v_cndmask_b32_e64 v44, 0x7fc00000, v12, s22
	s_delay_alu instid0(VALU_DEP_2) | instskip(NEXT) | instid1(VALU_DEP_1)
	v_fmaak_f32 v12, s36, v11, 0x3c0881c4
	v_fmaak_f32 v12, v11, v12, 0xbe2aaa9d
	s_delay_alu instid0(VALU_DEP_1) | instskip(NEXT) | instid1(VALU_DEP_1)
	v_mul_f32_e32 v12, v11, v12
	v_dual_fmac_f32 v5, v5, v12 :: v_dual_fmaak_f32 v12, s38, v11, 0xbab64f3b
	s_delay_alu instid0(VALU_DEP_1) | instskip(NEXT) | instid1(VALU_DEP_1)
	v_fmaak_f32 v12, v11, v12, 0x3d2aabf7
	v_fmaak_f32 v12, v11, v12, 0xbf000004
	s_delay_alu instid0(VALU_DEP_1) | instskip(SKIP_1) | instid1(VALU_DEP_1)
	v_fma_f32 v11, v11, v12, 1.0
	v_dual_lshlrev_b32 v10, 30, v10 :: v_dual_bitop2_b32 v12, 1, v10 bitop3:0x40
	v_cmp_eq_u32_e32 vcc_lo, 0, v12
	s_delay_alu instid0(VALU_DEP_2) | instskip(NEXT) | instid1(VALU_DEP_4)
	v_and_b32_e32 v13, 0x80000000, v10
	v_dual_cndmask_b32 v12, -v5, v11, vcc_lo :: v_dual_cndmask_b32 v5, v11, v5, vcc_lo
	v_cmp_neq_f32_e32 vcc_lo, 1.0, v16
	s_delay_alu instid0(VALU_DEP_2) | instskip(NEXT) | instid1(VALU_DEP_3)
	v_bitop3_b32 v10, v10, v12, 0x80000000 bitop3:0x6c
	v_xor_b32_e32 v5, v106, v5
	s_delay_alu instid0(VALU_DEP_2) | instskip(NEXT) | instid1(VALU_DEP_2)
	v_cndmask_b32_e64 v11, 0x7fc00000, v10, s19
	v_xor3_b32 v5, v5, v108, v13
	s_delay_alu instid0(VALU_DEP_1) | instskip(SKIP_2) | instid1(VALU_DEP_2)
	v_cndmask_b32_e64 v10, 0xffc00000, -v5, s19
	v_or_b32_e32 v5, v6, v37
	s_mov_b32 s19, 0x3f2aaaaa
	v_pk_mul_f32 v[34:35], v[10:11], v[34:35]
	s_delay_alu instid0(VALU_DEP_2) | instskip(NEXT) | instid1(VALU_DEP_1)
	v_xor3_b32 v5, v5, v19, v39
	v_cndmask_b32_e64 v36, 0x7fc00000, v5, s22
	s_delay_alu instid0(VALU_DEP_1) | instskip(NEXT) | instid1(VALU_DEP_1)
	v_cndmask_b32_e32 v37, 1.0, v36, vcc_lo
	v_cmp_neq_f32_e32 vcc_lo, 0, v37
	v_cmp_neq_f32_e64 s16, v37, |v37|
	v_cndmask_b32_e32 v39, 1.0, v16, vcc_lo
	s_delay_alu instid0(VALU_DEP_1) | instskip(SKIP_1) | instid1(VALU_DEP_2)
	v_frexp_mant_f32_e64 v5, |v39|
	v_cmp_lt_f32_e64 s17, |v39|, 1.0
	v_cmp_gt_f32_e32 vcc_lo, 0x3f2aaaab, v5
	s_xor_b32 s16, s16, s17
	v_cmp_gt_f32_e64 s17, 0, v37
	v_cndmask_b32_e64 v6, 1.0, 2.0, vcc_lo
	s_delay_alu instid0(VALU_DEP_1) | instskip(NEXT) | instid1(VALU_DEP_1)
	v_mul_f32_e32 v5, v5, v6
	v_dual_add_f32 v6, 1.0, v5 :: v_dual_add_f32 v11, -1.0, v5
	s_delay_alu instid0(VALU_DEP_1) | instskip(NEXT) | instid1(VALU_DEP_1)
	v_add_f32_e32 v10, -1.0, v6
	v_sub_f32_e32 v10, v5, v10
	v_rcp_f32_e32 v78, v6
	v_nop
	s_delay_alu instid0(TRANS32_DEP_1) | instskip(NEXT) | instid1(VALU_DEP_1)
	v_mul_f32_e32 v5, v11, v78
	v_mul_f32_e32 v12, v6, v5
	s_delay_alu instid0(VALU_DEP_1) | instskip(NEXT) | instid1(VALU_DEP_1)
	v_fma_f32 v50, v5, v6, -v12
	v_fmac_f32_e32 v50, v5, v10
	s_delay_alu instid0(VALU_DEP_1) | instskip(NEXT) | instid1(VALU_DEP_1)
	v_add_f32_e32 v10, v12, v50
	v_dual_sub_f32 v13, v11, v10 :: v_dual_mov_b32 v51, v10
	s_delay_alu instid0(VALU_DEP_1) | instskip(NEXT) | instid1(VALU_DEP_1)
	v_pk_add_f32 v[76:77], v[10:11], v[12:13] neg_lo:[0,1] neg_hi:[0,1]
	v_pk_add_f32 v[10:11], v[76:77], v[50:51] neg_lo:[0,1] neg_hi:[0,1]
	s_delay_alu instid0(VALU_DEP_1) | instskip(NEXT) | instid1(VALU_DEP_1)
	v_add_f32_e32 v6, v10, v11
	v_add_f32_e32 v6, v13, v6
	s_delay_alu instid0(VALU_DEP_1) | instskip(NEXT) | instid1(VALU_DEP_1)
	v_mul_f32_e32 v6, v78, v6
	v_add_f32_e32 v10, v5, v6
	s_delay_alu instid0(VALU_DEP_1) | instskip(NEXT) | instid1(VALU_DEP_1)
	v_sub_f32_e32 v5, v10, v5
	v_sub_f32_e32 v5, v6, v5
	s_delay_alu instid0(VALU_DEP_1) | instskip(NEXT) | instid1(VALU_DEP_1)
	v_dual_mul_f32 v6, v10, v10 :: v_dual_add_f32 v12, v5, v5
	v_fma_f32 v11, v10, v10, -v6
	s_delay_alu instid0(VALU_DEP_1) | instskip(NEXT) | instid1(VALU_DEP_1)
	v_fmac_f32_e32 v11, v10, v12
	v_add_f32_e32 v12, v6, v11
	s_delay_alu instid0(VALU_DEP_1) | instskip(NEXT) | instid1(VALU_DEP_1)
	v_dual_fmaak_f32 v13, s18, v12, 0x3e91f4c4 :: v_dual_sub_f32 v6, v12, v6
	v_dual_fmaak_f32 v13, v12, v13, 0x3ecccdef :: v_dual_sub_f32 v6, v11, v6
	s_delay_alu instid0(VALU_DEP_1) | instskip(NEXT) | instid1(VALU_DEP_1)
	v_mul_f32_e32 v11, v12, v13
	v_fma_f32 v50, v12, v13, -v11
	s_delay_alu instid0(VALU_DEP_1) | instskip(NEXT) | instid1(VALU_DEP_1)
	v_fmac_f32_e32 v50, v6, v13
	v_add_f32_e32 v13, v11, v50
	s_delay_alu instid0(VALU_DEP_1) | instskip(SKIP_1) | instid1(VALU_DEP_1)
	v_add_f32_e32 v51, 0x3f2aaaaa, v13
	v_sub_f32_e32 v11, v13, v11
	v_sub_f32_e32 v11, v50, v11
	s_delay_alu instid0(VALU_DEP_3) | instskip(NEXT) | instid1(VALU_DEP_2)
	v_add_f32_e32 v50, 0xbf2aaaaa, v51
	v_add_f32_e32 v11, 0x31739010, v11
	s_delay_alu instid0(VALU_DEP_2) | instskip(NEXT) | instid1(VALU_DEP_1)
	v_sub_f32_e32 v13, v13, v50
	v_pk_mul_f32 v[76:77], v[10:11], v[12:13]
	s_delay_alu instid0(VALU_DEP_1) | instskip(NEXT) | instid1(VALU_DEP_1)
	v_fma_f32 v50, v12, v10, -v76
	v_fmac_f32_e32 v50, v12, v5
	v_pk_add_f32 v[78:79], v[10:11], v[12:13]
	v_ldexp_f32 v5, v5, 1
	s_delay_alu instid0(VALU_DEP_2) | instskip(NEXT) | instid1(VALU_DEP_1)
	v_dual_fmac_f32 v50, v6, v10 :: v_dual_mov_b32 v77, v79
	v_pk_add_f32 v[12:13], v[76:77], v[50:51]
	s_delay_alu instid0(VALU_DEP_1) | instskip(NEXT) | instid1(VALU_DEP_1)
	v_sub_f32_e32 v6, v12, v76
	v_dual_sub_f32 v11, v50, v6 :: v_dual_sub_f32 v6, v51, v13
	s_delay_alu instid0(VALU_DEP_1) | instskip(SKIP_1) | instid1(VALU_DEP_2)
	v_dual_add_f32 v77, v79, v6 :: v_dual_mov_b32 v6, v13
	v_ldexp_f32 v79, v10, 1
	v_pk_mul_f32 v[50:51], v[12:13], v[6:7]
	s_delay_alu instid0(VALU_DEP_1) | instskip(NEXT) | instid1(VALU_DEP_1)
	v_dual_mov_b32 v51, v79 :: v_dual_fma_f32 v76, v12, v13, -v50
	v_fmac_f32_e32 v76, v12, v77
	s_delay_alu instid0(VALU_DEP_1) | instskip(SKIP_1) | instid1(VALU_DEP_1)
	v_fmac_f32_e32 v76, v11, v13
	v_cvt_f64_f32_e64 v[12:13], |v39|
	v_frexp_exp_i32_f64_e32 v6, v[12:13]
	s_delay_alu instid0(VALU_DEP_3) | instskip(NEXT) | instid1(VALU_DEP_1)
	v_add_f32_e32 v13, v50, v76
	v_mov_b32_e32 v106, v13
	s_delay_alu instid0(VALU_DEP_3) | instskip(NEXT) | instid1(VALU_DEP_1)
	v_subrev_co_ci_u32_e64 v6, null, 0, v6, vcc_lo
	v_cvt_f32_i32_e32 v6, v6
	s_delay_alu instid0(VALU_DEP_1) | instskip(NEXT) | instid1(VALU_DEP_1)
	v_mul_f32_e32 v12, 0x3f317218, v6
	v_fma_f32 v78, 0x3f317218, v6, -v12
	s_delay_alu instid0(VALU_DEP_1) | instskip(NEXT) | instid1(VALU_DEP_1)
	v_fmac_f32_e32 v78, 0xb102e308, v6
	v_pk_add_f32 v[10:11], v[12:13], v[78:79]
	s_delay_alu instid0(VALU_DEP_1) | instskip(NEXT) | instid1(VALU_DEP_2)
	v_dual_mov_b32 v77, v13 :: v_dual_mov_b32 v79, v10
	v_mov_b32_e32 v107, v11
	s_delay_alu instid0(VALU_DEP_1) | instskip(NEXT) | instid1(VALU_DEP_1)
	v_pk_add_f32 v[50:51], v[106:107], v[50:51] neg_lo:[0,1] neg_hi:[0,1]
	v_pk_add_f32 v[50:51], v[76:77], v[50:51] neg_lo:[0,1] neg_hi:[0,1]
	s_delay_alu instid0(VALU_DEP_1) | instskip(NEXT) | instid1(VALU_DEP_1)
	v_add_f32_e32 v5, v5, v50
	v_add_f32_e32 v13, v5, v51
	s_delay_alu instid0(VALU_DEP_1) | instskip(SKIP_1) | instid1(VALU_DEP_2)
	v_pk_add_f32 v[76:77], v[10:11], v[12:13]
	v_pk_add_f32 v[50:51], v[10:11], v[12:13] neg_lo:[0,1] neg_hi:[0,1]
	v_mov_b32_e32 v51, v77
	s_delay_alu instid0(VALU_DEP_1) | instskip(SKIP_1) | instid1(VALU_DEP_1)
	v_pk_add_f32 v[106:107], v[78:79], v[50:51] neg_lo:[0,1] neg_hi:[0,1]
	v_pk_add_f32 v[50:51], v[78:79], v[50:51]
	v_dual_mov_b32 v50, v77 :: v_dual_mov_b32 v6, v51
	v_dual_mov_b32 v107, v51 :: v_dual_mov_b32 v12, v13
	v_mov_b32_e32 v13, v10
	s_delay_alu instid0(VALU_DEP_3) | instskip(NEXT) | instid1(VALU_DEP_1)
	v_pk_add_f32 v[78:79], v[6:7], v[10:11] neg_lo:[0,1] neg_hi:[0,1]
	v_mov_b32_e32 v5, v78
	s_delay_alu instid0(VALU_DEP_1) | instskip(SKIP_2) | instid1(VALU_DEP_2)
	v_pk_add_f32 v[108:109], v[76:77], v[4:5] neg_lo:[0,1] neg_hi:[0,1]
	v_dual_mov_b32 v76, v11 :: v_dual_mov_b32 v77, v78
	v_mov_b32_e32 v108, v106
	v_pk_add_f32 v[50:51], v[50:51], v[76:77] neg_lo:[0,1] neg_hi:[0,1]
	s_delay_alu instid0(VALU_DEP_1) | instskip(NEXT) | instid1(VALU_DEP_1)
	v_pk_add_f32 v[10:11], v[12:13], v[50:51] neg_lo:[0,1] neg_hi:[0,1]
	v_pk_add_f32 v[12:13], v[108:109], v[10:11]
	s_delay_alu instid0(VALU_DEP_1) | instskip(NEXT) | instid1(VALU_DEP_1)
	v_mov_b32_e32 v50, v13
	v_pk_add_f32 v[50:51], v[12:13], v[50:51]
	s_delay_alu instid0(VALU_DEP_1) | instskip(NEXT) | instid1(VALU_DEP_1)
	v_pk_add_f32 v[76:77], v[6:7], v[50:51]
	v_dual_mov_b32 v51, v44 :: v_dual_mov_b32 v13, v76
	s_delay_alu instid0(VALU_DEP_1) | instskip(SKIP_2) | instid1(VALU_DEP_3)
	v_pk_add_f32 v[78:79], v[12:13], v[106:107] neg_lo:[0,1] neg_hi:[0,1]
	v_mov_b32_e32 v11, v50
	v_cndmask_b32_e64 v50, 0x7fc00000, v74, s6
	v_sub_f32_e32 v5, v12, v78
	s_delay_alu instid0(VALU_DEP_3) | instskip(NEXT) | instid1(VALU_DEP_2)
	v_pk_add_f32 v[10:11], v[10:11], v[78:79] neg_lo:[0,1] neg_hi:[0,1]
	v_sub_f32_e32 v5, v106, v5
	s_delay_alu instid0(VALU_DEP_1) | instskip(NEXT) | instid1(VALU_DEP_1)
	v_add_f32_e32 v5, v10, v5
	v_add_f32_e32 v5, v5, v11
	s_delay_alu instid0(VALU_DEP_1) | instskip(NEXT) | instid1(VALU_DEP_1)
	v_add_f32_e32 v6, v76, v5
	v_sub_f32_e32 v10, v6, v76
	s_delay_alu instid0(VALU_DEP_1) | instskip(SKIP_1) | instid1(VALU_DEP_1)
	v_sub_f32_e32 v5, v5, v10
	v_mul_f32_e32 v10, v37, v6
	v_fma_f32 v6, v37, v6, -v10
	v_cmp_class_f32_e64 vcc_lo, v10, 0x204
	s_delay_alu instid0(VALU_DEP_2) | instskip(NEXT) | instid1(VALU_DEP_1)
	v_fmac_f32_e32 v6, v37, v5
	v_add_f32_e32 v5, v10, v6
	s_delay_alu instid0(VALU_DEP_1) | instskip(NEXT) | instid1(VALU_DEP_1)
	v_dual_sub_f32 v11, v5, v10 :: v_dual_cndmask_b32 v5, v5, v10, vcc_lo
	v_sub_f32_e32 v6, v6, v11
	s_delay_alu instid0(VALU_DEP_2) | instskip(NEXT) | instid1(VALU_DEP_2)
	v_cmp_neq_f32_e64 vcc_lo, 0x7f800000, |v5|
	v_cndmask_b32_e32 v6, 0, v6, vcc_lo
	v_cmp_eq_f32_e32 vcc_lo, 0x42b17218, v5
	s_delay_alu instid0(VALU_DEP_3) | instskip(NEXT) | instid1(VALU_DEP_1)
	v_cndmask_b32_e64 v10, 0, 0x37000000, vcc_lo
	v_sub_f32_e32 v5, v5, v10
	s_delay_alu instid0(VALU_DEP_4) | instskip(NEXT) | instid1(VALU_DEP_2)
	v_add_f32_e32 v6, v10, v6
	v_mul_f32_e32 v10, 0x3fb8aa3b, v5
	v_cmp_ngt_f32_e32 vcc_lo, 0xc2ce8ed0, v5
	s_delay_alu instid0(VALU_DEP_2) | instskip(SKIP_1) | instid1(VALU_DEP_1)
	v_fma_f32 v11, 0x3fb8aa3b, v5, -v10
	v_rndne_f32_e32 v12, v10
	v_dual_fmac_f32 v11, 0x32a5705f, v5 :: v_dual_sub_f32 v10, v10, v12
	s_delay_alu instid0(VALU_DEP_1) | instskip(SKIP_1) | instid1(VALU_DEP_2)
	v_add_f32_e32 v10, v10, v11
	v_cvt_i32_f32_e32 v11, v12
	v_exp_f32_e32 v10, v10
	v_nop
	s_delay_alu instid0(TRANS32_DEP_1) | instskip(NEXT) | instid1(VALU_DEP_1)
	v_ldexp_f32 v10, v10, v11
	v_dual_mov_b32 v11, v44 :: v_dual_cndmask_b32 v10, 0, v10
	v_cmp_nlt_f32_e32 vcc_lo, 0x42b17218, v5
	s_delay_alu instid0(VALU_DEP_2) | instskip(NEXT) | instid1(VALU_DEP_1)
	v_cndmask_b32_e32 v5, 0x7f800000, v10, vcc_lo
	v_fma_f32 v6, v5, v6, v5
	v_cmp_class_f32_e64 vcc_lo, v5, 0x204
	s_delay_alu instid0(VALU_DEP_2) | instskip(SKIP_1) | instid1(VALU_DEP_1)
	v_cndmask_b32_e32 v5, v6, v5, vcc_lo
	v_trunc_f32_e32 v6, v37
	v_cmp_eq_f32_e32 vcc_lo, v6, v37
	v_mul_f32_e32 v6, 0.5, v37
	s_delay_alu instid0(VALU_DEP_1) | instskip(NEXT) | instid1(VALU_DEP_1)
	v_trunc_f32_e32 v10, v6
	v_cmp_neq_f32_e64 s15, v10, v6
	s_and_b32 vcc_lo, vcc_lo, s15
	v_cmp_class_f32_e64 s15, v37, 0x204
	v_dual_cndmask_b32 v6, 1.0, v39, vcc_lo :: v_dual_cndmask_b32 v10, 0, v39, vcc_lo
	v_cmp_o_f32_e32 vcc_lo, v39, v37
	s_delay_alu instid0(VALU_DEP_2) | instskip(SKIP_2) | instid1(VALU_DEP_1)
	v_bfi_b32 v5, 0x7fffffff, v5, v6
	v_cndmask_b32_e64 v6, 0x7f800000, 0, s16
	v_cmp_neq_f32_e64 s16, |v39|, 1.0
	v_cndmask_b32_e64 v6, 1.0, v6, s16
	v_cmp_class_f32_e64 s16, v39, 0x204
	s_delay_alu instid0(VALU_DEP_2) | instskip(SKIP_3) | instid1(SALU_CYCLE_1)
	v_cndmask_b32_e64 v5, v5, v6, s15
	v_cmp_eq_f32_e64 s15, 0, v39
	s_or_b32 s16, s15, s16
	s_xor_b32 s15, s17, s15
	v_cndmask_b32_e64 v6, 0x7f800000, 0, s15
	v_cmp_lt_u32_e64 s15, 31, v103
	s_delay_alu instid0(VALU_DEP_2) | instskip(NEXT) | instid1(VALU_DEP_1)
	v_bfi_b32 v6, 0x7fffffff, v6, v10
	v_dual_cndmask_b32 v5, v5, v6, s16 :: v_dual_cndmask_b32 v6, v119, v121, s20
	s_delay_alu instid0(VALU_DEP_1) | instskip(SKIP_1) | instid1(VALU_DEP_2)
	v_cndmask_b32_e32 v10, 0x7fc00000, v5, vcc_lo
	v_cndmask_b32_e64 v5, v118, v120, s20
	v_mov_b32_e32 v37, v10
	s_delay_alu instid0(VALU_DEP_1) | instskip(NEXT) | instid1(VALU_DEP_3)
	v_pk_mul_f32 v[36:37], v[36:37], v[10:11]
	v_mul_f32_e32 v10, v5, v5
	s_delay_alu instid0(VALU_DEP_1) | instskip(NEXT) | instid1(VALU_DEP_1)
	v_fmaak_f32 v11, s36, v10, 0x3c0881c4
	v_fmaak_f32 v11, v10, v11, 0xbe2aaa9d
	s_delay_alu instid0(VALU_DEP_1) | instskip(NEXT) | instid1(VALU_DEP_1)
	v_mul_f32_e32 v11, v10, v11
	v_fmac_f32_e32 v5, v5, v11
	v_fmaak_f32 v11, s38, v10, 0xbab64f3b
	s_delay_alu instid0(VALU_DEP_1) | instskip(NEXT) | instid1(VALU_DEP_1)
	v_fmaak_f32 v11, v10, v11, 0x3d2aabf7
	v_fmaak_f32 v11, v10, v11, 0xbf000004
	s_delay_alu instid0(VALU_DEP_1) | instskip(SKIP_1) | instid1(VALU_DEP_1)
	v_fma_f32 v10, v10, v11, 1.0
	v_dual_lshlrev_b32 v6, 30, v6 :: v_dual_bitop2_b32 v11, 1, v6 bitop3:0x40
	v_cmp_eq_u32_e32 vcc_lo, 0, v11
	s_delay_alu instid0(VALU_DEP_2) | instskip(NEXT) | instid1(VALU_DEP_4)
	v_and_b32_e32 v6, 0x80000000, v6
	v_dual_cndmask_b32 v11, -v5, v10, vcc_lo :: v_dual_cndmask_b32 v5, v10, v5, vcc_lo
	v_cmp_lt_u32_e32 vcc_lo, 31, v104
	s_delay_alu instid0(VALU_DEP_2) | instskip(SKIP_1) | instid1(VALU_DEP_2)
	v_xor3_b32 v5, v116, v5, v117
	v_cndmask_b32_e32 v107, v66, v67, vcc_lo
	v_xor_b32_e32 v5, v6, v5
	v_dual_cndmask_b32 v6, v57, v52, s15 :: v_dual_bitop2_b32 v10, v6, v11 bitop3:0x14
	s_delay_alu instid0(VALU_DEP_1) | instskip(NEXT) | instid1(VALU_DEP_3)
	v_cndmask_b32_e64 v11, 0x7fc00000, v10, s21
	v_cndmask_b32_e64 v10, 0x7fc00000, v5, s21
	;; [unrolled: 1-line block ×3, first 2 shown]
	s_delay_alu instid0(VALU_DEP_2) | instskip(SKIP_1) | instid1(VALU_DEP_3)
	v_pk_mul_f32 v[38:39], v[38:39], v[10:11] op_sel_hi:[0,1]
	v_cndmask_b32_e64 v10, 0, 0xffffffe0, vcc_lo
	v_dual_add_nc_u32 v103, v5, v103 :: v_dual_cndmask_b32 v5, v54, v56, s13
	v_cndmask_b32_e64 v54, v55, v54, s13
	v_cmp_gt_f32_e64 s13, 0x48000000, |v47|
	s_delay_alu instid0(VALU_DEP_4) | instskip(NEXT) | instid1(VALU_DEP_4)
	v_dual_add_nc_u32 v104, v10, v104 :: v_dual_cndmask_b32 v10, v69, v102, s14
	v_dual_cndmask_b32 v12, v5, v57, s15 :: v_dual_sub_nc_u32 v56, 32, v103
	v_cmp_eq_u32_e64 s17, 0, v103
	s_delay_alu instid0(VALU_DEP_3) | instskip(NEXT) | instid1(VALU_DEP_4)
	v_sub_nc_u32_e32 v13, 32, v104
	v_cndmask_b32_e32 v11, v10, v68, vcc_lo
	v_cmp_eq_u32_e64 s16, 0, v104
	v_alignbit_b32 v57, v12, v6, v56
	v_cndmask_b32_e64 v55, v101, v69, s14
	v_cndmask_b32_e64 v5, v54, v5, s15
	s_mov_b32 s14, 0x3ec54587
	s_delay_alu instid0(VALU_DEP_2) | instskip(NEXT) | instid1(VALU_DEP_1)
	v_dual_cndmask_b32 v74, v57, v12, s17 :: v_dual_cndmask_b32 v10, v55, v10, vcc_lo
	v_alignbit_b32 v54, v10, v11, v13
	s_delay_alu instid0(VALU_DEP_1) | instskip(NEXT) | instid1(VALU_DEP_1)
	v_cndmask_b32_e64 v10, v54, v10, s16
	v_lshrrev_b32_e32 v57, 30, v10
	v_alignbit_b32 v12, v5, v12, v56
	v_lshrrev_b32_e32 v102, 29, v10
	v_bfe_i32 v106, v10, 29, 1
	s_delay_alu instid0(VALU_DEP_3) | instskip(NEXT) | instid1(VALU_DEP_1)
	v_cndmask_b32_e64 v5, v12, v5, s17
	v_bfe_i32 v54, v5, 29, 1
	v_cndmask_b32_e64 v52, v52, v53, s15
	v_alignbit_b32 v12, v5, v74, 30
	s_delay_alu instid0(VALU_DEP_2) | instskip(NEXT) | instid1(VALU_DEP_2)
	v_alignbit_b32 v53, v6, v52, v56
	v_dual_lshrrev_b32 v69, 29, v5 :: v_dual_bitop2_b32 v12, v12, v54 bitop3:0x14
	s_delay_alu instid0(VALU_DEP_2) | instskip(NEXT) | instid1(VALU_DEP_2)
	v_cndmask_b32_e64 v6, v53, v6, s17
	v_clz_i32_u32_e32 v55, v12
	s_delay_alu instid0(VALU_DEP_2) | instskip(NEXT) | instid1(VALU_DEP_2)
	v_alignbit_b32 v53, v74, v6, 30
	v_min_u32_e32 v55, 32, v55
	s_delay_alu instid0(VALU_DEP_2) | instskip(SKIP_1) | instid1(VALU_DEP_1)
	v_xor_b32_e32 v53, v53, v54
	v_alignbit_b32 v6, v6, v52, 30
	v_dual_sub_nc_u32 v56, 31, v55 :: v_dual_bitop2_b32 v6, v6, v54 bitop3:0x14
	s_delay_alu instid0(VALU_DEP_1) | instskip(NEXT) | instid1(VALU_DEP_2)
	v_alignbit_b32 v12, v12, v53, v56
	v_alignbit_b32 v6, v53, v6, v56
	s_delay_alu instid0(VALU_DEP_1) | instskip(SKIP_1) | instid1(VALU_DEP_2)
	v_alignbit_b32 v52, v12, v6, 9
	v_lshrrev_b32_e32 v12, 9, v12
	v_clz_i32_u32_e32 v53, v52
	s_delay_alu instid0(VALU_DEP_1) | instskip(NEXT) | instid1(VALU_DEP_1)
	v_min_u32_e32 v53, 32, v53
	v_not_b32_e32 v54, v53
	v_add_lshl_u32 v53, v53, v55, 23
	s_delay_alu instid0(VALU_DEP_2) | instskip(NEXT) | instid1(VALU_DEP_1)
	v_alignbit_b32 v6, v52, v6, v54
	v_dual_lshlrev_b32 v52, 31, v69 :: v_dual_lshrrev_b32 v6, 9, v6
	s_delay_alu instid0(VALU_DEP_1) | instskip(NEXT) | instid1(VALU_DEP_1)
	v_or_b32_e32 v54, 0x33000000, v52
	v_dual_sub_nc_u32 v101, v54, v53 :: v_dual_bitop2_b32 v52, 0.5, v52 bitop3:0x54
	v_lshlrev_b32_e32 v53, 23, v55
	s_delay_alu instid0(VALU_DEP_1) | instskip(SKIP_2) | instid1(VALU_DEP_2)
	v_sub_nc_u32_e32 v52, v52, v53
	v_dual_cndmask_b32 v53, v68, v66 :: v_dual_lshrrev_b32 v68, 30, v5
	v_cmp_gt_f32_e64 vcc_lo, 0x48000000, |v46|
	v_alignbit_b32 v54, v11, v53, v13
	s_delay_alu instid0(VALU_DEP_1) | instskip(NEXT) | instid1(VALU_DEP_1)
	v_dual_cndmask_b32 v11, v54, v11, s16 :: v_dual_bitop2_b32 v52, v12, v52 bitop3:0x54
	v_alignbit_b32 v54, v10, v11, 30
	v_alignbit_b32 v10, v53, v107, v13
	s_delay_alu instid0(VALU_DEP_2) | instskip(NEXT) | instid1(VALU_DEP_2)
	v_xor_b32_e32 v5, v54, v106
	v_cndmask_b32_e64 v108, v10, v53, s16
	s_delay_alu instid0(VALU_DEP_1) | instskip(NEXT) | instid1(VALU_DEP_1)
	v_alignbit_b32 v10, v11, v108, 30
	v_xor_b32_e32 v104, v10, v106
	s_delay_alu instid0(VALU_DEP_4) | instskip(NEXT) | instid1(VALU_DEP_1)
	v_clz_i32_u32_e32 v10, v5
	v_min_u32_e32 v66, 32, v10
	s_delay_alu instid0(VALU_DEP_1) | instskip(SKIP_1) | instid1(VALU_DEP_2)
	v_dual_sub_nc_u32 v105, 31, v66 :: v_dual_lshlrev_b32 v11, 23, v66
	v_lshlrev_b32_e32 v67, 31, v102
	v_alignbit_b32 v103, v5, v104, v105
	s_delay_alu instid0(VALU_DEP_2) | instskip(NEXT) | instid1(VALU_DEP_2)
	v_or_b32_e32 v10, 0.5, v67
	v_lshrrev_b32_e32 v5, 9, v103
	s_delay_alu instid0(VALU_DEP_2) | instskip(NEXT) | instid1(VALU_DEP_1)
	v_sub_nc_u32_e32 v10, v10, v11
	v_or_b32_e32 v53, v5, v10
	v_mul_f32_e64 v5, 0x3f22f983, |v46|
	s_delay_alu instid0(VALU_DEP_1) | instskip(SKIP_1) | instid1(VALU_DEP_1)
	v_rndne_f32_e32 v56, v5
	v_alignbit_b32 v5, v108, v107, 30
	v_xor_b32_e32 v5, v5, v106
	s_delay_alu instid0(VALU_DEP_1) | instskip(NEXT) | instid1(VALU_DEP_1)
	v_alignbit_b32 v5, v104, v5, v105
	v_alignbit_b32 v10, v103, v5, 9
	s_delay_alu instid0(VALU_DEP_1) | instskip(NEXT) | instid1(VALU_DEP_1)
	v_clz_i32_u32_e32 v11, v10
	v_min_u32_e32 v11, 32, v11
	s_delay_alu instid0(VALU_DEP_1) | instskip(SKIP_1) | instid1(VALU_DEP_2)
	v_not_b32_e32 v12, v11
	v_add_lshl_u32 v11, v11, v66, 23
	v_alignbit_b32 v5, v10, v5, v12
	v_or_b32_e32 v10, 0x33000000, v67
	s_delay_alu instid0(VALU_DEP_1) | instskip(SKIP_1) | instid1(VALU_DEP_2)
	v_dual_lshrrev_b32 v5, 9, v5 :: v_dual_sub_nc_u32 v10, v10, v11
	v_pk_mul_f32 v[54:55], v[52:53], s[48:49] op_sel_hi:[1,0]
	v_dual_add_nc_u32 v5, v69, v68 :: v_dual_bitop2_b32 v11, v10, v5 bitop3:0x54
	s_delay_alu instid0(VALU_DEP_2) | instskip(SKIP_2) | instid1(VALU_DEP_3)
	v_pk_fma_f32 v[12:13], v[52:53], s[48:49], v[54:55] op_sel_hi:[1,0,1] neg_lo:[0,0,1] neg_hi:[0,0,1]
	v_or_b32_e32 v10, v101, v6
	v_add_nc_u32_e32 v6, v57, v102
	v_pk_fma_f32 v[12:13], v[52:53], s[50:51], v[12:13] op_sel_hi:[1,0,1]
	s_delay_alu instid0(VALU_DEP_1) | instskip(NEXT) | instid1(VALU_DEP_1)
	v_pk_fma_f32 v[10:11], v[10:11], s[48:49], v[12:13] op_sel_hi:[1,0,1]
	v_pk_add_f32 v[52:53], v[54:55], v[10:11]
	v_mul_f32_e64 v10, 0x3f22f983, |v47|
	s_delay_alu instid0(VALU_DEP_1) | instskip(NEXT) | instid1(VALU_DEP_1)
	v_rndne_f32_e32 v57, v10
	v_pk_fma_f32 v[10:11], v[56:57], s[46:47], v[48:49] op_sel_hi:[1,0,1]
	s_delay_alu instid0(VALU_DEP_1) | instskip(NEXT) | instid1(VALU_DEP_1)
	v_pk_fma_f32 v[10:11], v[56:57], s[44:45], v[10:11] op_sel_hi:[1,0,1]
	v_pk_fma_f32 v[10:11], v[56:57], s[42:43], v[10:11] op_sel_hi:[1,0,1]
	v_cvt_i32_f32_e32 v56, v56
	v_cvt_i32_f32_e32 v57, v57
	s_delay_alu instid0(VALU_DEP_3) | instskip(NEXT) | instid1(VALU_DEP_1)
	v_dual_cndmask_b32 v11, v53, v11, s13 :: v_dual_cndmask_b32 v10, v52, v10, vcc_lo
	v_pk_mul_f32 v[12:13], v[10:11], v[10:11]
	s_delay_alu instid0(VALU_DEP_1) | instskip(SKIP_2) | instid1(VALU_DEP_3)
	v_dual_fmaak_f32 v52, s23, v12, 0xbf039337 :: v_dual_fmaak_f32 v53, s23, v13, 0xbf039337
	v_pk_fma_f32 v[54:55], v[12:13], s[40:41], s[14:15] op_sel_hi:[1,0,0]
	v_dual_cndmask_b32 v6, v6, v57, s13 :: v_dual_cndmask_b32 v5, v5, v56, vcc_lo
	v_dual_fmaak_f32 v52, v12, v52, 0x3f93f425 :: v_dual_fmaak_f32 v53, v13, v53, 0x3f93f425
	s_delay_alu instid0(VALU_DEP_2) | instskip(NEXT) | instid1(VALU_DEP_2)
	v_and_b32_e32 v6, 1, v6
	v_rcp_f32_e32 v52, v52
	s_delay_alu instid0(VALU_DEP_2) | instskip(NEXT) | instid1(VALU_DEP_1)
	v_rcp_f32_e32 v53, v53
	v_cmp_eq_u32_e64 s13, 0, v6
	s_delay_alu instid0(TRANS32_DEP_1) | instskip(NEXT) | instid1(VALU_DEP_1)
	v_pk_mul_f32 v[52:53], v[54:55], v[52:53]
	v_pk_mul_f32 v[12:13], v[12:13], v[52:53]
	s_delay_alu instid0(VALU_DEP_1) | instskip(NEXT) | instid1(VALU_DEP_1)
	v_pk_fma_f32 v[52:53], v[12:13], v[10:11], v[10:11]
	v_rcp_f32_e32 v54, v52
	s_delay_alu instid0(VALU_DEP_1) | instskip(SKIP_1) | instid1(VALU_DEP_1)
	v_rcp_f32_e32 v55, v53
	v_pk_add_f32 v[56:57], v[52:53], v[10:11] neg_lo:[0,1] neg_hi:[0,1]
	v_pk_fma_f32 v[56:57], v[12:13], v[10:11], v[56:57] neg_lo:[0,0,1] neg_hi:[0,0,1]
	s_delay_alu instid0(TRANS32_DEP_1) | instskip(SKIP_1) | instid1(VALU_DEP_2)
	v_pk_fma_f32 v[10:11], v[52:53], v[54:55], 1.0 op_sel_hi:[1,1,0] neg_lo:[0,1,0] neg_hi:[0,1,0]
	v_mov_b32_e32 v13, v75
	v_pk_fma_f32 v[10:11], v[56:57], v[54:55], v[10:11] neg_lo:[0,1,0] neg_hi:[0,1,0]
	v_mov_b32_e32 v57, v75
	s_delay_alu instid0(VALU_DEP_2) | instskip(SKIP_1) | instid1(VALU_DEP_2)
	v_pk_fma_f32 v[10:11], v[10:11], v[54:55], v[54:55] neg_lo:[0,1,1] neg_hi:[0,1,1]
	v_dual_mov_b32 v55, v75 :: v_dual_bitop2_b32 v66, 1, v5 bitop3:0x40
	v_cndmask_b32_e64 v6, v11, v53, s13
	s_delay_alu instid0(VALU_DEP_2) | instskip(SKIP_1) | instid1(VALU_DEP_3)
	v_cmp_eq_u32_e32 vcc_lo, 0, v66
	v_mov_b32_e32 v53, v75
	v_dual_cndmask_b32 v52, v10, v52, vcc_lo :: v_dual_bitop2_b32 v5, v47, v6 bitop3:0x14
	s_delay_alu instid0(VALU_DEP_1) | instskip(NEXT) | instid1(VALU_DEP_1)
	v_dual_mov_b32 v47, v75 :: v_dual_bitop2_b32 v6, v46, v52 bitop3:0x14
	v_xor_b32_e32 v6, v6, v48
	s_delay_alu instid0(VALU_DEP_1) | instskip(NEXT) | instid1(VALU_DEP_1)
	v_cndmask_b32_e64 v104, 0x7fc00000, v6, s10
	v_and_b32_e32 v67, 0x7fffffff, v104
	s_delay_alu instid0(VALU_DEP_1) | instskip(NEXT) | instid1(VALU_DEP_1)
	v_and_or_b32 v74, v67, s33, 0x800000
	v_mul_u64_e32 v[10:11], s[34:35], v[74:75]
	s_delay_alu instid0(VALU_DEP_1) | instskip(NEXT) | instid1(VALU_DEP_1)
	v_mov_b32_e32 v12, v11
	v_mad_nc_u64_u32 v[12:13], 0x3c439041, v74, v[12:13]
	s_delay_alu instid0(VALU_DEP_1) | instskip(SKIP_1) | instid1(VALU_DEP_2)
	v_mov_b32_e32 v46, v13
	v_dual_mov_b32 v49, v75 :: v_dual_bitop2_b32 v5, v5, v49 bitop3:0x14
	v_mad_nc_u64_u32 v[46:47], 0xdb629599, v74, v[46:47]
	s_delay_alu instid0(VALU_DEP_2) | instskip(SKIP_1) | instid1(VALU_DEP_2)
	v_cndmask_b32_e64 v103, 0x7fc00000, v5, s11
	v_lshrrev_b32_e32 v5, 23, v67
	v_and_b32_e32 v66, 0x7fffffff, v103
	s_delay_alu instid0(VALU_DEP_2) | instskip(NEXT) | instid1(VALU_DEP_1)
	v_dual_mov_b32 v48, v47 :: v_dual_add_nc_u32 v5, 0xffffff88, v5
	v_cmp_lt_u32_e32 vcc_lo, 63, v5
	s_delay_alu instid0(VALU_DEP_2) | instskip(SKIP_1) | instid1(VALU_DEP_1)
	v_mad_nc_u64_u32 v[48:49], 0xf534ddc0, v74, v[48:49]
	v_cndmask_b32_e64 v6, 0, 0xffffffc0, vcc_lo
	v_add_nc_u32_e32 v5, v6, v5
	s_delay_alu instid0(VALU_DEP_1) | instskip(NEXT) | instid1(VALU_DEP_4)
	v_cmp_lt_u32_e64 s10, 31, v5
	v_mov_b32_e32 v52, v49
	s_delay_alu instid0(VALU_DEP_2) | instskip(NEXT) | instid1(VALU_DEP_2)
	v_cndmask_b32_e64 v6, 0, 0xffffffe0, s10
	v_mad_nc_u64_u32 v[52:53], 0xfc2757d1, v74, v[52:53]
	s_delay_alu instid0(VALU_DEP_2) | instskip(NEXT) | instid1(VALU_DEP_1)
	v_add_nc_u32_e32 v5, v6, v5
	v_cmp_lt_u32_e64 s11, 31, v5
	s_delay_alu instid0(VALU_DEP_3) | instskip(NEXT) | instid1(VALU_DEP_2)
	v_dual_mov_b32 v54, v53 :: v_dual_mov_b32 v53, v75
	v_cndmask_b32_e64 v6, 0, 0xffffffe0, s11
	s_delay_alu instid0(VALU_DEP_2) | instskip(NEXT) | instid1(VALU_DEP_2)
	v_mad_nc_u64_u32 v[54:55], 0x4e441529, v74, v[54:55]
	v_add_nc_u32_e32 v5, v6, v5
	s_delay_alu instid0(VALU_DEP_1) | instskip(NEXT) | instid1(VALU_DEP_3)
	v_cmp_eq_u32_e64 s13, 0, v5
	v_dual_cndmask_b32 v6, v54, v48, vcc_lo :: v_dual_mov_b32 v56, v55
	v_mov_b32_e32 v55, v75
	s_delay_alu instid0(VALU_DEP_2) | instskip(SKIP_1) | instid1(VALU_DEP_2)
	v_mad_nc_u64_u32 v[56:57], 0xa2f9836e, v74, v[56:57]
	v_and_or_b32 v74, v66, s33, 0x800000
	v_dual_cndmask_b32 v11, v56, v52, vcc_lo :: v_dual_cndmask_b32 v47, v57, v54, vcc_lo
	s_delay_alu instid0(VALU_DEP_1) | instskip(NEXT) | instid1(VALU_DEP_2)
	v_cndmask_b32_e64 v13, v11, v6, s10
	v_dual_cndmask_b32 v11, v47, v11, s10 :: v_dual_cndmask_b32 v47, v52, v46, vcc_lo
	s_delay_alu instid0(VALU_DEP_1) | instskip(NEXT) | instid1(VALU_DEP_1)
	v_dual_cndmask_b32 v6, v6, v47, s10 :: v_dual_cndmask_b32 v11, v11, v13, s11
	v_dual_cndmask_b32 v13, v13, v6, s11 :: v_dual_sub_nc_u32 v5, 32, v5
	s_delay_alu instid0(VALU_DEP_1) | instskip(NEXT) | instid1(VALU_DEP_1)
	v_alignbit_b32 v49, v11, v13, v5
	v_dual_cndmask_b32 v116, v49, v11, s13 :: v_dual_cndmask_b32 v11, v48, v12, vcc_lo
	v_dual_cndmask_b32 v10, v46, v10 :: v_dual_mov_b32 v49, v75
	s_delay_alu instid0(VALU_DEP_2) | instskip(NEXT) | instid1(VALU_DEP_1)
	v_dual_lshrrev_b32 v108, 30, v116 :: v_dual_cndmask_b32 v12, v47, v11, s10
	v_dual_cndmask_b32 v6, v6, v12, s11 :: v_dual_cndmask_b32 v10, v11, v10, s10
	s_delay_alu instid0(VALU_DEP_1) | instskip(NEXT) | instid1(VALU_DEP_1)
	v_alignbit_b32 v47, v13, v6, v5
	v_dual_cndmask_b32 v110, v47, v13, s13 :: v_dual_cndmask_b32 v10, v12, v10, s11
	v_dual_mov_b32 v13, v75 :: v_dual_mov_b32 v47, v75
	s_delay_alu instid0(VALU_DEP_2) | instskip(NEXT) | instid1(VALU_DEP_1)
	v_alignbit_b32 v5, v6, v10, v5
	v_cndmask_b32_e64 v111, v5, v6, s13
	v_mul_f32_e64 v5, 0x3f22f983, |v104|
	s_delay_alu instid0(VALU_DEP_1) | instskip(SKIP_1) | instid1(VALU_DEP_2)
	v_rndne_f32_e32 v69, v5
	v_lshrrev_b32_e32 v5, 23, v66
	v_cvt_i32_f32_e32 v105, v69
	s_delay_alu instid0(VALU_DEP_2) | instskip(NEXT) | instid1(VALU_DEP_1)
	v_add_nc_u32_e32 v5, 0xffffff88, v5
	v_cmp_lt_u32_e32 vcc_lo, 63, v5
	v_cndmask_b32_e64 v6, 0, 0xffffffc0, vcc_lo
	s_delay_alu instid0(VALU_DEP_1) | instskip(NEXT) | instid1(VALU_DEP_1)
	v_add_nc_u32_e32 v5, v6, v5
	v_cmp_lt_u32_e64 s10, 31, v5
	s_delay_alu instid0(VALU_DEP_1) | instskip(NEXT) | instid1(VALU_DEP_1)
	v_cndmask_b32_e64 v6, 0, 0xffffffe0, s10
	v_add_nc_u32_e32 v5, v6, v5
	s_delay_alu instid0(VALU_DEP_1) | instskip(NEXT) | instid1(VALU_DEP_1)
	v_cmp_lt_u32_e64 s11, 31, v5
	v_cndmask_b32_e64 v6, 0, 0xffffffe0, s11
	s_delay_alu instid0(VALU_DEP_1) | instskip(SKIP_2) | instid1(VALU_DEP_3)
	v_add_nc_u32_e32 v5, v6, v5
	v_alignbit_b32 v112, v111, v10, 30
	v_mul_u64_e32 v[10:11], s[34:35], v[74:75]
	v_cmp_eq_u32_e64 s13, 0, v5
	s_delay_alu instid0(VALU_DEP_2) | instskip(NEXT) | instid1(VALU_DEP_1)
	v_dual_mov_b32 v12, v11 :: v_dual_sub_nc_u32 v5, 32, v5
	v_mad_nc_u64_u32 v[12:13], 0x3c439041, v74, v[12:13]
	s_delay_alu instid0(VALU_DEP_1) | instskip(NEXT) | instid1(VALU_DEP_1)
	v_mov_b32_e32 v46, v13
	v_mad_nc_u64_u32 v[46:47], 0xdb629599, v74, v[46:47]
	s_delay_alu instid0(VALU_DEP_1) | instskip(NEXT) | instid1(VALU_DEP_1)
	v_mov_b32_e32 v48, v47
	;; [unrolled: 3-line block ×3, first 2 shown]
	v_mad_nc_u64_u32 v[52:53], 0xfc2757d1, v74, v[52:53]
	s_delay_alu instid0(VALU_DEP_1) | instskip(NEXT) | instid1(VALU_DEP_1)
	v_dual_mov_b32 v57, v75 :: v_dual_mov_b32 v54, v53
	v_mad_nc_u64_u32 v[54:55], 0x4e441529, v74, v[54:55]
	s_delay_alu instid0(VALU_DEP_1) | instskip(NEXT) | instid1(VALU_DEP_1)
	v_dual_cndmask_b32 v6, v54, v48, vcc_lo :: v_dual_mov_b32 v56, v55
	v_mad_nc_u64_u32 v[56:57], 0xa2f9836e, v74, v[56:57]
	s_delay_alu instid0(VALU_DEP_1) | instskip(NEXT) | instid1(VALU_DEP_1)
	v_cndmask_b32_e32 v11, v56, v52, vcc_lo
	v_cndmask_b32_e64 v13, v11, v6, s10
	s_delay_alu instid0(VALU_DEP_3) | instskip(NEXT) | instid1(VALU_DEP_1)
	v_cndmask_b32_e32 v47, v57, v54, vcc_lo
	v_dual_cndmask_b32 v11, v47, v11, s10 :: v_dual_cndmask_b32 v47, v52, v46, vcc_lo
	s_delay_alu instid0(VALU_DEP_1) | instskip(NEXT) | instid1(VALU_DEP_1)
	v_dual_cndmask_b32 v6, v6, v47, s10 :: v_dual_cndmask_b32 v11, v11, v13, s11
	v_cndmask_b32_e64 v13, v13, v6, s11
	s_delay_alu instid0(VALU_DEP_1) | instskip(NEXT) | instid1(VALU_DEP_1)
	v_alignbit_b32 v49, v11, v13, v5
	v_dual_cndmask_b32 v115, v49, v11, s13 :: v_dual_cndmask_b32 v11, v48, v12, vcc_lo
	s_delay_alu instid0(VALU_DEP_1) | instskip(NEXT) | instid1(VALU_DEP_2)
	v_dual_cndmask_b32 v10, v46, v10 :: v_dual_lshrrev_b32 v107, 30, v115
	v_cndmask_b32_e64 v12, v47, v11, s10
	s_delay_alu instid0(VALU_DEP_2) | instskip(SKIP_1) | instid1(VALU_DEP_3)
	v_cndmask_b32_e64 v10, v11, v10, s10
	v_cmp_class_f32_e64 s10, v103, 0x1f8
	v_cndmask_b32_e64 v6, v6, v12, s11
	s_delay_alu instid0(VALU_DEP_1) | instskip(NEXT) | instid1(VALU_DEP_1)
	v_alignbit_b32 v47, v13, v6, v5
	v_dual_cndmask_b32 v113, v47, v13, s13 :: v_dual_cndmask_b32 v10, v12, v10, s11
	v_cmp_class_f32_e64 s11, v104, 0x1f8
	s_delay_alu instid0(VALU_DEP_2) | instskip(NEXT) | instid1(VALU_DEP_1)
	v_alignbit_b32 v5, v6, v10, v5
	v_dual_cndmask_b32 v114, v5, v6, s13 :: v_dual_cndmask_b32 v6, v98, v100, s9
	v_mul_f32_e64 v5, 0x3f22f983, |v103|
	s_delay_alu instid0(VALU_DEP_1) | instskip(SKIP_1) | instid1(VALU_DEP_4)
	v_rndne_f32_e32 v68, v5
	v_cndmask_b32_e64 v5, v97, v99, s9
	v_alignbit_b32 v109, v114, v10, 30
	s_delay_alu instid0(VALU_DEP_3) | instskip(NEXT) | instid1(VALU_DEP_3)
	v_cvt_i32_f32_e32 v106, v68
	v_mul_f32_e32 v10, v5, v5
	s_delay_alu instid0(VALU_DEP_1) | instskip(NEXT) | instid1(VALU_DEP_1)
	v_fmaak_f32 v11, s36, v10, 0x3c0881c4
	v_fmaak_f32 v11, v10, v11, 0xbe2aaa9d
	s_delay_alu instid0(VALU_DEP_1) | instskip(NEXT) | instid1(VALU_DEP_1)
	v_mul_f32_e32 v11, v10, v11
	v_fmac_f32_e32 v5, v5, v11
	v_fmaak_f32 v11, s38, v10, 0xbab64f3b
	s_delay_alu instid0(VALU_DEP_1) | instskip(NEXT) | instid1(VALU_DEP_1)
	v_fmaak_f32 v11, v10, v11, 0x3d2aabf7
	v_fmaak_f32 v11, v10, v11, 0xbf000004
	s_delay_alu instid0(VALU_DEP_1) | instskip(SKIP_1) | instid1(VALU_DEP_1)
	v_fma_f32 v10, v10, v11, 1.0
	v_dual_lshlrev_b32 v6, 30, v6 :: v_dual_bitop2_b32 v11, 1, v6 bitop3:0x40
	v_cmp_eq_u32_e32 vcc_lo, 0, v11
	s_delay_alu instid0(VALU_DEP_2) | instskip(NEXT) | instid1(VALU_DEP_4)
	v_and_b32_e32 v6, 0x80000000, v6
	v_cndmask_b32_e32 v5, v10, v5, vcc_lo
	s_delay_alu instid0(VALU_DEP_1) | instskip(NEXT) | instid1(VALU_DEP_1)
	v_xor3_b32 v5, v6, v93, v5
	v_dual_lshlrev_b32 v6, 30, v95 :: v_dual_bitop2_b32 v5, v5, v94 bitop3:0x14
	s_delay_alu instid0(VALU_DEP_1) | instskip(NEXT) | instid1(VALU_DEP_2)
	v_and_b32_e32 v54, 0x80000000, v6
	v_cndmask_b32_e64 v57, 0x7fc00000, v5, s12
	s_delay_alu instid0(VALU_DEP_2) | instskip(NEXT) | instid1(VALU_DEP_2)
	v_xor_b32_e32 v6, v54, v96
	v_cmp_eq_f32_e32 vcc_lo, 1.0, v57
	v_frexp_mant_f32_e64 v5, |v57|
	s_delay_alu instid0(VALU_DEP_3) | instskip(SKIP_2) | instid1(VALU_DEP_4)
	v_cndmask_b32_e64 v56, 0x7fc00000, v6, s8
	v_cmp_gt_f32_e64 s12, 0, v57
	v_cndmask_b32_e64 v55, 0x40400000, 1.0, vcc_lo
	v_cmp_gt_f32_e32 vcc_lo, 0x3f2aaaab, v5
	v_cndmask_b32_e64 v6, 1.0, 2.0, vcc_lo
	s_delay_alu instid0(VALU_DEP_1) | instskip(NEXT) | instid1(VALU_DEP_1)
	v_mul_f32_e32 v5, v5, v6
	v_dual_add_f32 v6, 1.0, v5 :: v_dual_add_f32 v11, -1.0, v5
	s_delay_alu instid0(VALU_DEP_1)
	v_rcp_f32_e32 v52, v6
	v_add_f32_e32 v10, -1.0, v6
	s_delay_alu instid0(TRANS32_DEP_1) | instid1(VALU_DEP_1)
	v_dual_sub_f32 v10, v5, v10 :: v_dual_mul_f32 v5, v11, v52
	s_delay_alu instid0(VALU_DEP_1) | instskip(NEXT) | instid1(VALU_DEP_1)
	v_mul_f32_e32 v12, v6, v5
	v_fma_f32 v46, v5, v6, -v12
	s_delay_alu instid0(VALU_DEP_1) | instskip(NEXT) | instid1(VALU_DEP_1)
	v_fmac_f32_e32 v46, v5, v10
	v_add_f32_e32 v10, v12, v46
	s_delay_alu instid0(VALU_DEP_1) | instskip(NEXT) | instid1(VALU_DEP_1)
	v_dual_sub_f32 v13, v11, v10 :: v_dual_mov_b32 v47, v10
	v_pk_add_f32 v[48:49], v[10:11], v[12:13] neg_lo:[0,1] neg_hi:[0,1]
	s_delay_alu instid0(VALU_DEP_1) | instskip(SKIP_1) | instid1(VALU_DEP_2)
	v_pk_add_f32 v[10:11], v[48:49], v[46:47] neg_lo:[0,1] neg_hi:[0,1]
	v_mov_b64_e32 v[48:49], s[18:19]
	v_add_f32_e32 v6, v10, v11
	s_delay_alu instid0(VALU_DEP_1) | instskip(NEXT) | instid1(VALU_DEP_1)
	v_add_f32_e32 v6, v13, v6
	v_mul_f32_e32 v6, v52, v6
	v_mov_b64_e32 v[52:53], 0xbf2aaaaa31739010
	s_delay_alu instid0(VALU_DEP_2) | instskip(NEXT) | instid1(VALU_DEP_1)
	v_add_f32_e32 v10, v5, v6
	v_sub_f32_e32 v5, v10, v5
	s_delay_alu instid0(VALU_DEP_1) | instskip(NEXT) | instid1(VALU_DEP_1)
	v_sub_f32_e32 v74, v6, v5
	v_add_f32_e32 v11, v74, v74
	v_mul_f32_e32 v5, v10, v10
	s_delay_alu instid0(VALU_DEP_1) | instskip(NEXT) | instid1(VALU_DEP_1)
	v_fma_f32 v6, v10, v10, -v5
	v_fmac_f32_e32 v6, v10, v11
	s_delay_alu instid0(VALU_DEP_1) | instskip(NEXT) | instid1(VALU_DEP_1)
	v_add_f32_e32 v12, v5, v6
	v_sub_f32_e32 v5, v12, v5
	s_delay_alu instid0(VALU_DEP_1) | instskip(SKIP_1) | instid1(VALU_DEP_2)
	v_dual_sub_f32 v6, v6, v5 :: v_dual_fmaak_f32 v11, s18, v12, 0x3e91f4c4
	v_mov_b32_e32 v47, 0x3f2aaaaa
	v_fmaak_f32 v11, v12, v11, 0x3ecccdef
	s_delay_alu instid0(VALU_DEP_1) | instskip(NEXT) | instid1(VALU_DEP_1)
	v_mul_f32_e32 v5, v12, v11
	v_fma_f32 v46, v12, v11, -v5
	s_delay_alu instid0(VALU_DEP_1) | instskip(NEXT) | instid1(VALU_DEP_1)
	v_fmac_f32_e32 v46, v6, v11
	v_add_f32_e32 v77, v5, v46
	s_delay_alu instid0(VALU_DEP_1) | instskip(NEXT) | instid1(VALU_DEP_1)
	v_sub_f32_e32 v76, v77, v5
	v_pk_add_f32 v[94:95], v[76:77], v[48:49]
	v_pk_add_f32 v[78:79], v[46:47], v[76:77] neg_lo:[0,1] neg_hi:[0,1]
	s_delay_alu instid0(VALU_DEP_2) | instskip(NEXT) | instid1(VALU_DEP_1)
	v_mov_b32_e32 v79, v95
	v_pk_add_f32 v[78:79], v[78:79], v[52:53]
	s_delay_alu instid0(VALU_DEP_1) | instskip(SKIP_1) | instid1(VALU_DEP_2)
	v_dual_mov_b32 v11, v78 :: v_dual_sub_f32 v13, v77, v79
	v_mov_b32_e32 v5, v78
	v_pk_mul_f32 v[76:77], v[10:11], v[12:13]
	s_delay_alu instid0(VALU_DEP_2) | instskip(NEXT) | instid1(VALU_DEP_1)
	v_pk_add_f32 v[78:79], v[4:5], v[12:13]
	v_dual_fma_f32 v94, v12, v10, -v76 :: v_dual_mov_b32 v77, v79
	s_delay_alu instid0(VALU_DEP_1) | instskip(NEXT) | instid1(VALU_DEP_1)
	v_fmac_f32_e32 v94, v12, v74
	v_fmac_f32_e32 v94, v6, v10
	s_delay_alu instid0(VALU_DEP_1) | instskip(NEXT) | instid1(VALU_DEP_1)
	v_pk_add_f32 v[12:13], v[76:77], v[94:95]
	v_dual_sub_f32 v5, v12, v76 :: v_dual_sub_f32 v6, v95, v13
	v_ldexp_f32 v95, v10, 1
	s_delay_alu instid0(VALU_DEP_2) | instskip(SKIP_1) | instid1(VALU_DEP_1)
	v_dual_sub_f32 v5, v94, v5 :: v_dual_add_f32 v11, v79, v6
	v_mov_b32_e32 v6, v13
	v_pk_mul_f32 v[76:77], v[12:13], v[6:7]
	s_delay_alu instid0(VALU_DEP_1) | instskip(NEXT) | instid1(VALU_DEP_1)
	v_dual_mov_b32 v77, v95 :: v_dual_fma_f32 v78, v12, v13, -v76
	v_fmac_f32_e32 v78, v12, v11
	s_delay_alu instid0(VALU_DEP_1) | instskip(SKIP_1) | instid1(VALU_DEP_1)
	v_fmac_f32_e32 v78, v5, v13
	v_cvt_f64_f32_e64 v[12:13], |v57|
	v_frexp_exp_i32_f64_e32 v5, v[12:13]
	s_delay_alu instid0(VALU_DEP_3) | instskip(NEXT) | instid1(VALU_DEP_1)
	v_add_f32_e32 v13, v76, v78
	v_dual_mov_b32 v96, v13 :: v_dual_mov_b32 v79, v13
	s_delay_alu instid0(VALU_DEP_3) | instskip(NEXT) | instid1(VALU_DEP_1)
	v_subrev_co_ci_u32_e64 v5, null, 0, v5, vcc_lo
	v_cvt_f32_i32_e32 v5, v5
	s_delay_alu instid0(VALU_DEP_1) | instskip(NEXT) | instid1(VALU_DEP_1)
	v_mul_f32_e32 v12, 0x3f317218, v5
	v_fma_f32 v94, 0x3f317218, v5, -v12
	s_delay_alu instid0(VALU_DEP_1) | instskip(SKIP_1) | instid1(VALU_DEP_2)
	v_fmac_f32_e32 v94, 0xb102e308, v5
	v_ldexp_f32 v5, v74, 1
	v_pk_add_f32 v[10:11], v[12:13], v[94:95]
	s_delay_alu instid0(VALU_DEP_1) | instskip(NEXT) | instid1(VALU_DEP_1)
	v_dual_mov_b32 v97, v11 :: v_dual_mov_b32 v95, v10
	v_pk_add_f32 v[76:77], v[96:97], v[76:77] neg_lo:[0,1] neg_hi:[0,1]
	s_delay_alu instid0(VALU_DEP_1) | instskip(NEXT) | instid1(VALU_DEP_1)
	v_pk_add_f32 v[76:77], v[78:79], v[76:77] neg_lo:[0,1] neg_hi:[0,1]
	v_add_f32_e32 v5, v5, v76
	s_delay_alu instid0(VALU_DEP_1) | instskip(NEXT) | instid1(VALU_DEP_1)
	v_add_f32_e32 v13, v5, v77
	v_pk_add_f32 v[78:79], v[10:11], v[12:13]
	v_pk_add_f32 v[76:77], v[10:11], v[12:13] neg_lo:[0,1] neg_hi:[0,1]
	v_dual_mov_b32 v12, v13 :: v_dual_mov_b32 v13, v10
	s_delay_alu instid0(VALU_DEP_3) | instskip(NEXT) | instid1(VALU_DEP_1)
	v_mov_b32_e32 v77, v79
	v_pk_add_f32 v[96:97], v[94:95], v[76:77] neg_lo:[0,1] neg_hi:[0,1]
	v_pk_add_f32 v[76:77], v[94:95], v[76:77]
	s_delay_alu instid0(VALU_DEP_1) | instskip(SKIP_1) | instid1(VALU_DEP_1)
	v_dual_mov_b32 v76, v79 :: v_dual_mov_b32 v97, v77
	v_mov_b32_e32 v6, v77
	v_pk_add_f32 v[94:95], v[6:7], v[10:11] neg_lo:[0,1] neg_hi:[0,1]
	s_delay_alu instid0(VALU_DEP_1) | instskip(NEXT) | instid1(VALU_DEP_1)
	v_mov_b32_e32 v5, v94
	v_pk_add_f32 v[98:99], v[78:79], v[4:5] neg_lo:[0,1] neg_hi:[0,1]
	v_dual_mov_b32 v78, v11 :: v_dual_mov_b32 v79, v94
	v_mov_b32_e32 v98, v96
	s_delay_alu instid0(VALU_DEP_2) | instskip(NEXT) | instid1(VALU_DEP_1)
	v_pk_add_f32 v[76:77], v[76:77], v[78:79] neg_lo:[0,1] neg_hi:[0,1]
	v_pk_add_f32 v[10:11], v[12:13], v[76:77] neg_lo:[0,1] neg_hi:[0,1]
	s_delay_alu instid0(VALU_DEP_1) | instskip(NEXT) | instid1(VALU_DEP_1)
	v_pk_add_f32 v[12:13], v[98:99], v[10:11]
	v_mov_b32_e32 v46, v13
	s_delay_alu instid0(VALU_DEP_1) | instskip(NEXT) | instid1(VALU_DEP_1)
	v_pk_add_f32 v[76:77], v[12:13], v[46:47]
	v_pk_add_f32 v[78:79], v[6:7], v[76:77]
	s_delay_alu instid0(VALU_DEP_1) | instskip(NEXT) | instid1(VALU_DEP_1)
	v_dual_mov_b32 v11, v76 :: v_dual_mov_b32 v13, v78
	v_pk_add_f32 v[94:95], v[12:13], v[96:97] neg_lo:[0,1] neg_hi:[0,1]
	s_delay_alu instid0(VALU_DEP_1) | instskip(NEXT) | instid1(VALU_DEP_2)
	v_dual_mov_b32 v97, v75 :: v_dual_sub_f32 v5, v12, v94
	v_pk_add_f32 v[10:11], v[10:11], v[94:95] neg_lo:[0,1] neg_hi:[0,1]
	s_delay_alu instid0(VALU_DEP_2) | instskip(NEXT) | instid1(VALU_DEP_1)
	v_sub_f32_e32 v5, v96, v5
	v_add_f32_e32 v5, v10, v5
	s_delay_alu instid0(VALU_DEP_1) | instskip(NEXT) | instid1(VALU_DEP_1)
	v_add_f32_e32 v5, v5, v11
	v_add_f32_e32 v6, v78, v5
	s_delay_alu instid0(VALU_DEP_1) | instskip(NEXT) | instid1(VALU_DEP_1)
	v_sub_f32_e32 v10, v6, v78
	v_sub_f32_e32 v5, v5, v10
	v_mul_f32_e32 v10, v55, v6
	s_delay_alu instid0(VALU_DEP_1) | instskip(SKIP_1) | instid1(VALU_DEP_2)
	v_fma_f32 v6, v55, v6, -v10
	v_cmp_class_f32_e64 vcc_lo, v10, 0x204
	v_fmac_f32_e32 v6, v55, v5
	s_delay_alu instid0(VALU_DEP_1) | instskip(NEXT) | instid1(VALU_DEP_1)
	v_add_f32_e32 v5, v10, v6
	v_dual_sub_f32 v11, v5, v10 :: v_dual_cndmask_b32 v5, v5, v10, vcc_lo
	s_delay_alu instid0(VALU_DEP_1) | instskip(NEXT) | instid1(VALU_DEP_2)
	v_sub_f32_e32 v6, v6, v11
	v_cmp_neq_f32_e64 vcc_lo, 0x7f800000, |v5|
	s_delay_alu instid0(VALU_DEP_2) | instskip(SKIP_1) | instid1(VALU_DEP_3)
	v_cndmask_b32_e32 v6, 0, v6, vcc_lo
	v_cmp_eq_f32_e32 vcc_lo, 0x42b17218, v5
	v_cndmask_b32_e64 v10, 0, 0x37000000, vcc_lo
	s_delay_alu instid0(VALU_DEP_1) | instskip(NEXT) | instid1(VALU_DEP_4)
	v_sub_f32_e32 v5, v5, v10
	v_add_f32_e32 v6, v10, v6
	s_delay_alu instid0(VALU_DEP_2) | instskip(NEXT) | instid1(VALU_DEP_1)
	v_mul_f32_e32 v10, 0x3fb8aa3b, v5
	v_fma_f32 v11, 0x3fb8aa3b, v5, -v10
	v_rndne_f32_e32 v12, v10
	s_delay_alu instid0(VALU_DEP_1) | instskip(NEXT) | instid1(VALU_DEP_1)
	v_dual_fmac_f32 v11, 0x32a5705f, v5 :: v_dual_sub_f32 v10, v10, v12
	v_add_f32_e32 v10, v10, v11
	v_cvt_i32_f32_e32 v11, v12
	v_cmp_ngt_f32_e32 vcc_lo, 0xc2ce8ed0, v5
	s_delay_alu instid0(VALU_DEP_3) | instskip(SKIP_1) | instid1(TRANS32_DEP_1)
	v_exp_f32_e32 v10, v10
	v_nop
	v_ldexp_f32 v10, v10, v11
	s_delay_alu instid0(VALU_DEP_1) | instskip(SKIP_1) | instid1(VALU_DEP_2)
	v_cndmask_b32_e32 v10, 0, v10, vcc_lo
	v_cmp_nlt_f32_e32 vcc_lo, 0x42b17218, v5
	v_cndmask_b32_e32 v5, 0x7f800000, v10, vcc_lo
	s_delay_alu instid0(VALU_DEP_1) | instskip(SKIP_1) | instid1(VALU_DEP_2)
	v_fma_f32 v6, v5, v6, v5
	v_cmp_class_f32_e64 vcc_lo, v5, 0x204
	v_cndmask_b32_e32 v5, v6, v5, vcc_lo
	v_trunc_f32_e32 v6, v55
	s_delay_alu instid0(VALU_DEP_1) | instskip(SKIP_1) | instid1(VALU_DEP_1)
	v_cmp_eq_f32_e32 vcc_lo, v6, v55
	v_mul_f32_e32 v6, 0.5, v55
	v_trunc_f32_e32 v10, v6
	s_delay_alu instid0(VALU_DEP_1) | instskip(SKIP_1) | instid1(SALU_CYCLE_1)
	v_cmp_neq_f32_e64 s9, v10, v6
	s_and_b32 s9, vcc_lo, s9
	v_dual_cndmask_b32 v6, 1.0, v57, s9 :: v_dual_cndmask_b32 v10, 0, v57, s9
	s_delay_alu instid0(VALU_DEP_1) | instskip(NEXT) | instid1(VALU_DEP_1)
	v_bfi_b32 v5, 0x7fffffff, v5, v6
	v_cndmask_b32_e32 v6, 0x7fc00000, v5, vcc_lo
	v_cmp_eq_f32_e32 vcc_lo, 0, v57
	s_delay_alu instid0(VALU_DEP_2) | instskip(SKIP_2) | instid1(VALU_DEP_2)
	v_cndmask_b32_e64 v5, v5, v6, s12
	v_cndmask_b32_e64 v6, 0x7f800000, 0, vcc_lo
	v_cmp_class_f32_e64 s12, v57, 0x204
	v_bfi_b32 v6, 0x7fffffff, v6, v10
	s_or_b32 s12, vcc_lo, s12
	v_cmp_o_f32_e32 vcc_lo, v57, v57
	s_delay_alu instid0(VALU_DEP_2) | instskip(SKIP_1) | instid1(VALU_DEP_2)
	v_cndmask_b32_e64 v5, v5, v6, s12
	v_cmp_gt_f32_e64 s12, 0x48000000, |v104|
	v_cndmask_b32_e32 v6, 0x7fc00000, v5, vcc_lo
	v_cndmask_b32_e64 v5, v92, v91, s7
	s_delay_alu instid0(VALU_DEP_1) | instskip(NEXT) | instid1(VALU_DEP_1)
	v_xor_b32_e32 v5, v17, v5
	v_xor3_b32 v5, v5, v86, v54
	s_delay_alu instid0(VALU_DEP_1) | instskip(NEXT) | instid1(VALU_DEP_1)
	v_cndmask_b32_e64 v17, 0x7fc00000, v5, s8
	v_cmp_eq_f32_e32 vcc_lo, 1.0, v17
	v_frexp_mant_f32_e64 v5, |v17|
	v_cmp_gt_f32_e64 s8, 0, v17
	v_cndmask_b32_e64 v54, 0x40400000, 1.0, vcc_lo
	s_delay_alu instid0(VALU_DEP_3) | instskip(SKIP_1) | instid1(VALU_DEP_1)
	v_cmp_gt_f32_e32 vcc_lo, 0x3f2aaaab, v5
	v_cndmask_b32_e64 v10, 1.0, 2.0, vcc_lo
	v_mul_f32_e32 v5, v5, v10
	s_delay_alu instid0(VALU_DEP_1) | instskip(NEXT) | instid1(VALU_DEP_1)
	v_add_f32_e32 v10, 1.0, v5
	v_add_f32_e32 v11, -1.0, v10
	s_delay_alu instid0(VALU_DEP_1)
	v_sub_f32_e32 v13, v5, v11
	v_rcp_f32_e32 v46, v10
	v_add_f32_e32 v11, -1.0, v5
	s_delay_alu instid0(TRANS32_DEP_1) | instid1(VALU_DEP_1)
	v_mul_f32_e32 v55, v11, v46
	s_delay_alu instid0(VALU_DEP_1) | instskip(NEXT) | instid1(VALU_DEP_1)
	v_mul_f32_e32 v12, v10, v55
	v_fma_f32 v76, v55, v10, -v12
	s_delay_alu instid0(VALU_DEP_1) | instskip(NEXT) | instid1(VALU_DEP_1)
	v_fmac_f32_e32 v76, v55, v13
	v_add_f32_e32 v10, v12, v76
	s_delay_alu instid0(VALU_DEP_1) | instskip(NEXT) | instid1(VALU_DEP_1)
	v_dual_sub_f32 v13, v11, v10 :: v_dual_mov_b32 v77, v10
	v_pk_add_f32 v[78:79], v[10:11], v[12:13] neg_lo:[0,1] neg_hi:[0,1]
	s_delay_alu instid0(VALU_DEP_1) | instskip(NEXT) | instid1(VALU_DEP_1)
	v_pk_add_f32 v[10:11], v[78:79], v[76:77] neg_lo:[0,1] neg_hi:[0,1]
	v_add_f32_e32 v5, v10, v11
	s_delay_alu instid0(VALU_DEP_1) | instskip(NEXT) | instid1(VALU_DEP_1)
	v_add_f32_e32 v86, v13, v5
	v_dual_mul_f32 v5, v46, v86 :: v_dual_mul_f32 v86, v16, v44
	s_delay_alu instid0(VALU_DEP_1) | instskip(NEXT) | instid1(VALU_DEP_1)
	v_add_f32_e32 v10, v55, v5
	v_sub_f32_e32 v11, v10, v55
	s_delay_alu instid0(VALU_DEP_1) | instskip(NEXT) | instid1(VALU_DEP_1)
	v_dual_sub_f32 v55, v5, v11 :: v_dual_mul_f32 v5, v10, v10
	v_dual_fma_f32 v11, v10, v10, -v5 :: v_dual_add_f32 v12, v55, v55
	s_delay_alu instid0(VALU_DEP_1) | instskip(NEXT) | instid1(VALU_DEP_1)
	v_fmac_f32_e32 v11, v10, v12
	v_add_f32_e32 v12, v5, v11
	s_delay_alu instid0(VALU_DEP_1) | instskip(NEXT) | instid1(VALU_DEP_1)
	v_sub_f32_e32 v5, v12, v5
	v_dual_sub_f32 v74, v11, v5 :: v_dual_fmaak_f32 v13, s18, v12, 0x3e91f4c4
	s_delay_alu instid0(VALU_DEP_1) | instskip(NEXT) | instid1(VALU_DEP_1)
	v_fmaak_f32 v13, v12, v13, 0x3ecccdef
	v_mul_f32_e32 v5, v12, v13
	s_delay_alu instid0(VALU_DEP_1) | instskip(NEXT) | instid1(VALU_DEP_1)
	v_fma_f32 v46, v12, v13, -v5
	v_fmac_f32_e32 v46, v74, v13
	s_delay_alu instid0(VALU_DEP_1) | instskip(NEXT) | instid1(VALU_DEP_1)
	v_add_f32_e32 v77, v5, v46
	v_sub_f32_e32 v76, v77, v5
	s_delay_alu instid0(VALU_DEP_1) | instskip(SKIP_1) | instid1(VALU_DEP_2)
	v_pk_add_f32 v[48:49], v[76:77], v[48:49]
	v_pk_add_f32 v[46:47], v[46:47], v[76:77] neg_lo:[0,1] neg_hi:[0,1]
	v_mov_b32_e32 v47, v49
	s_delay_alu instid0(VALU_DEP_1) | instskip(NEXT) | instid1(VALU_DEP_1)
	v_pk_add_f32 v[46:47], v[46:47], v[52:53]
	v_dual_mov_b32 v5, v46 :: v_dual_sub_f32 v13, v77, v47
	s_delay_alu instid0(VALU_DEP_1) | instskip(SKIP_1) | instid1(VALU_DEP_1)
	v_pk_add_f32 v[52:53], v[4:5], v[12:13]
	v_mov_b32_e32 v11, v46
	v_pk_mul_f32 v[46:47], v[10:11], v[12:13]
	s_delay_alu instid0(VALU_DEP_1) | instskip(NEXT) | instid1(VALU_DEP_1)
	v_dual_mov_b32 v47, v53 :: v_dual_fma_f32 v48, v12, v10, -v46
	v_fmac_f32_e32 v48, v12, v55
	s_delay_alu instid0(VALU_DEP_1) | instskip(NEXT) | instid1(VALU_DEP_1)
	v_fmac_f32_e32 v48, v74, v10
	v_pk_add_f32 v[12:13], v[46:47], v[48:49]
	s_delay_alu instid0(VALU_DEP_1) | instskip(SKIP_1) | instid1(VALU_DEP_2)
	v_dual_sub_f32 v5, v12, v46 :: v_dual_mov_b32 v46, v13
	v_sub_f32_e32 v11, v49, v13
	v_pk_mul_f32 v[46:47], v[12:13], v[46:47]
	s_delay_alu instid0(VALU_DEP_2) | instskip(SKIP_1) | instid1(VALU_DEP_1)
	v_dual_add_f32 v11, v53, v11 :: v_dual_sub_f32 v5, v48, v5
	v_ldexp_f32 v53, v10, 1
	v_dual_fma_f32 v48, v12, v13, -v46 :: v_dual_mov_b32 v47, v53
	s_delay_alu instid0(VALU_DEP_1) | instskip(NEXT) | instid1(VALU_DEP_1)
	v_fmac_f32_e32 v48, v12, v11
	v_fmac_f32_e32 v48, v5, v13
	v_cvt_f64_f32_e64 v[12:13], |v17|
	s_delay_alu instid0(VALU_DEP_1) | instskip(NEXT) | instid1(VALU_DEP_3)
	v_frexp_exp_i32_f64_e32 v5, v[12:13]
	v_add_f32_e32 v13, v46, v48
	s_delay_alu instid0(VALU_DEP_1) | instskip(NEXT) | instid1(VALU_DEP_3)
	v_dual_mov_b32 v49, v13 :: v_dual_mov_b32 v76, v13
	v_subrev_co_ci_u32_e64 v5, null, 0, v5, vcc_lo
	s_delay_alu instid0(VALU_DEP_1) | instskip(NEXT) | instid1(VALU_DEP_1)
	v_cvt_f32_i32_e32 v5, v5
	v_mul_f32_e32 v12, 0x3f317218, v5
	s_delay_alu instid0(VALU_DEP_1) | instskip(NEXT) | instid1(VALU_DEP_1)
	v_fma_f32 v52, 0x3f317218, v5, -v12
	v_fmac_f32_e32 v52, 0xb102e308, v5
	v_ldexp_f32 v5, v55, 1
	s_delay_alu instid0(VALU_DEP_2) | instskip(NEXT) | instid1(VALU_DEP_1)
	v_pk_add_f32 v[10:11], v[12:13], v[52:53]
	v_dual_mov_b32 v77, v11 :: v_dual_mov_b32 v53, v10
	s_delay_alu instid0(VALU_DEP_1) | instskip(NEXT) | instid1(VALU_DEP_1)
	v_pk_add_f32 v[46:47], v[76:77], v[46:47] neg_lo:[0,1] neg_hi:[0,1]
	v_pk_add_f32 v[46:47], v[48:49], v[46:47] neg_lo:[0,1] neg_hi:[0,1]
	s_delay_alu instid0(VALU_DEP_1) | instskip(NEXT) | instid1(VALU_DEP_1)
	v_add_f32_e32 v5, v5, v46
	v_add_f32_e32 v13, v5, v47
	s_delay_alu instid0(VALU_DEP_1) | instskip(SKIP_1) | instid1(VALU_DEP_2)
	v_pk_add_f32 v[48:49], v[10:11], v[12:13]
	v_pk_add_f32 v[46:47], v[10:11], v[12:13] neg_lo:[0,1] neg_hi:[0,1]
	v_mov_b32_e32 v47, v49
	s_delay_alu instid0(VALU_DEP_1) | instskip(SKIP_1) | instid1(VALU_DEP_1)
	v_pk_add_f32 v[76:77], v[52:53], v[46:47] neg_lo:[0,1] neg_hi:[0,1]
	v_pk_add_f32 v[46:47], v[52:53], v[46:47]
	v_dual_mov_b32 v46, v49 :: v_dual_mov_b32 v77, v47
	v_mov_b32_e32 v12, v47
	s_delay_alu instid0(VALU_DEP_1) | instskip(NEXT) | instid1(VALU_DEP_1)
	v_pk_add_f32 v[52:53], v[12:13], v[10:11] neg_lo:[0,1] neg_hi:[0,1]
	v_mov_b32_e32 v5, v52
	s_delay_alu instid0(VALU_DEP_1) | instskip(SKIP_2) | instid1(VALU_DEP_2)
	v_pk_add_f32 v[78:79], v[48:49], v[4:5] neg_lo:[0,1] neg_hi:[0,1]
	v_dual_mov_b32 v48, v11 :: v_dual_mov_b32 v49, v52
	v_mov_b32_e32 v78, v76
	v_pk_add_f32 v[46:47], v[46:47], v[48:49] neg_lo:[0,1] neg_hi:[0,1]
	v_dual_mov_b32 v48, v13 :: v_dual_mov_b32 v49, v10
	s_delay_alu instid0(VALU_DEP_1) | instskip(NEXT) | instid1(VALU_DEP_1)
	v_pk_add_f32 v[10:11], v[48:49], v[46:47] neg_lo:[0,1] neg_hi:[0,1]
	v_pk_add_f32 v[46:47], v[78:79], v[10:11]
	s_delay_alu instid0(VALU_DEP_1) | instskip(NEXT) | instid1(VALU_DEP_1)
	v_dual_mov_b32 v79, v75 :: v_dual_mov_b32 v48, v47
	v_pk_add_f32 v[48:49], v[46:47], v[48:49]
	s_delay_alu instid0(VALU_DEP_1) | instskip(NEXT) | instid1(VALU_DEP_1)
	v_pk_add_f32 v[12:13], v[12:13], v[48:49]
	v_mov_b32_e32 v47, v12
	s_delay_alu instid0(VALU_DEP_1) | instskip(SKIP_1) | instid1(VALU_DEP_2)
	v_pk_add_f32 v[52:53], v[46:47], v[76:77] neg_lo:[0,1] neg_hi:[0,1]
	v_dual_mov_b32 v11, v48 :: v_dual_mov_b32 v77, v75
	v_sub_f32_e32 v5, v46, v52
	s_delay_alu instid0(VALU_DEP_2) | instskip(NEXT) | instid1(VALU_DEP_2)
	v_pk_add_f32 v[10:11], v[10:11], v[52:53] neg_lo:[0,1] neg_hi:[0,1]
	v_sub_f32_e32 v5, v76, v5
	s_delay_alu instid0(VALU_DEP_1) | instskip(NEXT) | instid1(VALU_DEP_1)
	v_add_f32_e32 v5, v10, v5
	v_add_f32_e32 v5, v5, v11
	s_delay_alu instid0(VALU_DEP_1) | instskip(NEXT) | instid1(VALU_DEP_1)
	v_add_f32_e32 v10, v12, v5
	v_sub_f32_e32 v11, v10, v12
	s_delay_alu instid0(VALU_DEP_1) | instskip(NEXT) | instid1(VALU_DEP_1)
	v_dual_sub_f32 v5, v5, v11 :: v_dual_mul_f32 v11, v54, v10
	v_fma_f32 v10, v54, v10, -v11
	v_cmp_class_f32_e64 vcc_lo, v11, 0x204
	s_delay_alu instid0(VALU_DEP_2) | instskip(NEXT) | instid1(VALU_DEP_1)
	v_fmac_f32_e32 v10, v54, v5
	v_add_f32_e32 v5, v11, v10
	s_delay_alu instid0(VALU_DEP_1) | instskip(NEXT) | instid1(VALU_DEP_1)
	v_dual_sub_f32 v12, v5, v11 :: v_dual_cndmask_b32 v5, v5, v11
	v_sub_f32_e32 v10, v10, v12
	s_delay_alu instid0(VALU_DEP_2) | instskip(NEXT) | instid1(VALU_DEP_2)
	v_cmp_neq_f32_e64 vcc_lo, 0x7f800000, |v5|
	v_cndmask_b32_e32 v10, 0, v10, vcc_lo
	v_cmp_eq_f32_e32 vcc_lo, 0x42b17218, v5
	s_delay_alu instid0(VALU_DEP_3) | instskip(NEXT) | instid1(VALU_DEP_1)
	v_cndmask_b32_e64 v11, 0, 0x37000000, vcc_lo
	v_dual_sub_f32 v5, v5, v11 :: v_dual_add_f32 v10, v11, v10
	s_delay_alu instid0(VALU_DEP_1) | instskip(SKIP_1) | instid1(VALU_DEP_2)
	v_mul_f32_e32 v11, 0x3fb8aa3b, v5
	v_cmp_ngt_f32_e32 vcc_lo, 0xc2ce8ed0, v5
	v_fma_f32 v12, 0x3fb8aa3b, v5, -v11
	v_rndne_f32_e32 v13, v11
	s_delay_alu instid0(VALU_DEP_2) | instskip(NEXT) | instid1(VALU_DEP_2)
	v_fmac_f32_e32 v12, 0x32a5705f, v5
	v_sub_f32_e32 v11, v11, v13
	s_delay_alu instid0(VALU_DEP_1) | instskip(SKIP_2) | instid1(VALU_DEP_3)
	v_add_f32_e32 v11, v11, v12
	v_cvt_i32_f32_e32 v12, v13
	v_mov_b32_e32 v13, v50
	v_exp_f32_e32 v11, v11
	v_nop
	s_delay_alu instid0(TRANS32_DEP_1) | instskip(NEXT) | instid1(VALU_DEP_1)
	v_ldexp_f32 v11, v11, v12
	v_cndmask_b32_e32 v11, 0, v11, vcc_lo
	v_cmp_nlt_f32_e32 vcc_lo, 0x42b17218, v5
	s_delay_alu instid0(VALU_DEP_2) | instskip(NEXT) | instid1(VALU_DEP_1)
	v_cndmask_b32_e32 v5, 0x7f800000, v11, vcc_lo
	v_fma_f32 v10, v5, v10, v5
	v_cmp_class_f32_e64 vcc_lo, v5, 0x204
	s_delay_alu instid0(VALU_DEP_2) | instskip(SKIP_1) | instid1(VALU_DEP_1)
	v_cndmask_b32_e32 v5, v10, v5, vcc_lo
	v_trunc_f32_e32 v10, v54
	v_cmp_eq_f32_e32 vcc_lo, v10, v54
	v_mul_f32_e32 v10, 0.5, v54
	s_delay_alu instid0(VALU_DEP_1) | instskip(NEXT) | instid1(VALU_DEP_1)
	v_trunc_f32_e32 v11, v10
	v_cmp_neq_f32_e64 s7, v11, v10
	s_and_b32 s7, vcc_lo, s7
	s_delay_alu instid0(SALU_CYCLE_1) | instskip(NEXT) | instid1(VALU_DEP_1)
	v_dual_cndmask_b32 v10, 1.0, v17, s7 :: v_dual_cndmask_b32 v11, 0, v17, s7
	v_bfi_b32 v5, 0x7fffffff, v5, v10
	s_delay_alu instid0(VALU_DEP_1) | instskip(SKIP_1) | instid1(VALU_DEP_2)
	v_cndmask_b32_e32 v10, 0x7fc00000, v5, vcc_lo
	v_cmp_eq_f32_e32 vcc_lo, 0, v17
	v_cndmask_b32_e64 v5, v5, v10, s8
	v_cndmask_b32_e64 v10, 0x7f800000, 0, vcc_lo
	v_cmp_class_f32_e64 s8, v17, 0x204
	s_delay_alu instid0(VALU_DEP_2) | instskip(SKIP_2) | instid1(VALU_DEP_2)
	v_bfi_b32 v10, 0x7fffffff, v10, v11
	s_or_b32 s8, vcc_lo, s8
	v_cmp_o_f32_e32 vcc_lo, v17, v17
	v_dual_mov_b32 v17, v16 :: v_dual_cndmask_b32 v5, v5, v10, s8
	s_delay_alu instid0(VALU_DEP_1) | instskip(NEXT) | instid1(VALU_DEP_2)
	v_pk_mul_f32 v[56:57], v[16:17], v[56:57] op_sel_hi:[0,1]
	v_cndmask_b32_e32 v5, 0x7fc00000, v5, vcc_lo
	s_delay_alu instid0(VALU_DEP_1) | instskip(SKIP_1) | instid1(VALU_DEP_2)
	v_dual_add_f32 v11, v6, v5 :: v_dual_sub_f32 v10, v6, v5
	v_div_scale_f32 v5, null, v16, v16, v45
	v_pk_mul_f32 v[46:47], v[16:17], v[10:11] op_sel_hi:[0,1]
	v_cndmask_b32_e64 v11, 0x7fc00000, v85, s6
	s_delay_alu instid0(VALU_DEP_3) | instskip(NEXT) | instid1(VALU_DEP_1)
	v_rcp_f32_e32 v6, v5
	v_dual_mov_b32 v10, v45 :: v_dual_mov_b32 v12, v11
	s_delay_alu instid0(VALU_DEP_1) | instskip(NEXT) | instid1(TRANS32_DEP_1)
	v_pk_mul_f32 v[48:49], v[12:13], v[44:45]
	v_fma_f32 v12, -v5, v6, 1.0
	s_delay_alu instid0(VALU_DEP_1) | instskip(SKIP_1) | instid1(VALU_DEP_1)
	v_fmac_f32_e32 v6, v12, v6
	v_div_scale_f32 v12, vcc_lo, v45, v16, v45
	v_mul_f32_e32 v13, v12, v6
	s_delay_alu instid0(VALU_DEP_1) | instskip(NEXT) | instid1(VALU_DEP_1)
	v_fma_f32 v52, -v5, v13, v12
	v_fmac_f32_e32 v13, v52, v6
	s_delay_alu instid0(VALU_DEP_1) | instskip(NEXT) | instid1(VALU_DEP_1)
	v_fma_f32 v5, -v5, v13, v12
	v_div_fmas_f32 v5, v5, v6, v13
	v_pk_add_f32 v[12:13], v[10:11], v[50:51]
	v_pk_add_f32 v[10:11], v[10:11], v[50:51] neg_lo:[0,1] neg_hi:[0,1]
	v_cndmask_b32_e64 v6, v64, v70, s1
	s_delay_alu instid0(VALU_DEP_4) | instskip(NEXT) | instid1(VALU_DEP_4)
	v_div_fixup_f32 v85, v5, v16, v45
	v_dual_mov_b32 v11, v13 :: v_dual_cndmask_b32 v5, v63, v65, s1
	s_delay_alu instid0(VALU_DEP_1) | instskip(NEXT) | instid1(VALU_DEP_2)
	v_pk_mul_f32 v[50:51], v[16:17], v[10:11] op_sel_hi:[0,1]
	v_mul_f32_e32 v10, v5, v5
	s_delay_alu instid0(VALU_DEP_1) | instskip(NEXT) | instid1(VALU_DEP_1)
	v_fmaak_f32 v11, s36, v10, 0x3c0881c4
	v_fmaak_f32 v11, v10, v11, 0xbe2aaa9d
	s_delay_alu instid0(VALU_DEP_1) | instskip(NEXT) | instid1(VALU_DEP_1)
	v_mul_f32_e32 v11, v10, v11
	v_fmac_f32_e32 v5, v5, v11
	v_fmaak_f32 v11, s38, v10, 0xbab64f3b
	s_delay_alu instid0(VALU_DEP_1) | instskip(NEXT) | instid1(VALU_DEP_1)
	v_fmaak_f32 v11, v10, v11, 0x3d2aabf7
	v_fmaak_f32 v11, v10, v11, 0xbf000004
	s_delay_alu instid0(VALU_DEP_1) | instskip(SKIP_1) | instid1(VALU_DEP_1)
	v_fma_f32 v10, v10, v11, 1.0
	v_dual_lshlrev_b32 v6, 30, v6 :: v_dual_bitop2_b32 v11, 1, v6 bitop3:0x40
	v_cmp_eq_u32_e32 vcc_lo, 0, v11
	s_delay_alu instid0(VALU_DEP_2) | instskip(NEXT) | instid1(VALU_DEP_4)
	v_and_b32_e32 v6, 0x80000000, v6
	v_dual_cndmask_b32 v11, v10, v5, vcc_lo :: v_dual_cndmask_b32 v5, -v5, v10, vcc_lo
	s_delay_alu instid0(VALU_DEP_1) | instskip(NEXT) | instid1(VALU_DEP_2)
	v_xor3_b32 v11, v58, v11, v60
	v_xor_b32_e32 v5, v6, v5
	s_delay_alu instid0(VALU_DEP_2) | instskip(SKIP_1) | instid1(VALU_DEP_2)
	v_xor_b32_e32 v10, v6, v11
	v_cndmask_b32_e64 v6, v72, v87, s3
	v_cndmask_b32_e64 v11, 0x7fc00000, v10, s2
	s_delay_alu instid0(VALU_DEP_4) | instskip(SKIP_1) | instid1(VALU_DEP_2)
	v_cndmask_b32_e64 v10, 0x7fc00000, v5, s2
	v_cndmask_b32_e64 v5, v71, v73, s3
	v_pk_mul_f32 v[52:53], v[0:1], v[10:11] op_sel_hi:[0,1]
	s_delay_alu instid0(VALU_DEP_2) | instskip(NEXT) | instid1(VALU_DEP_1)
	v_mul_f32_e32 v10, v5, v5
	v_fmaak_f32 v11, s36, v10, 0x3c0881c4
	s_delay_alu instid0(VALU_DEP_1) | instskip(NEXT) | instid1(VALU_DEP_1)
	v_fmaak_f32 v11, v10, v11, 0xbe2aaa9d
	v_mul_f32_e32 v11, v10, v11
	s_delay_alu instid0(VALU_DEP_1) | instskip(SKIP_1) | instid1(VALU_DEP_1)
	v_fmac_f32_e32 v5, v5, v11
	v_fmaak_f32 v11, s38, v10, 0xbab64f3b
	v_fmaak_f32 v11, v10, v11, 0x3d2aabf7
	s_delay_alu instid0(VALU_DEP_1) | instskip(NEXT) | instid1(VALU_DEP_1)
	v_fmaak_f32 v11, v10, v11, 0xbf000004
	v_fma_f32 v10, v10, v11, 1.0
	v_dual_lshlrev_b32 v6, 30, v6 :: v_dual_bitop2_b32 v11, 1, v6 bitop3:0x40
	s_delay_alu instid0(VALU_DEP_1) | instskip(NEXT) | instid1(VALU_DEP_2)
	v_cmp_eq_u32_e32 vcc_lo, 0, v11
	v_and_b32_e32 v6, 0x80000000, v6
	s_delay_alu instid0(VALU_DEP_4) | instskip(NEXT) | instid1(VALU_DEP_1)
	v_dual_cndmask_b32 v11, v10, v5, vcc_lo :: v_dual_cndmask_b32 v5, -v5, v10, vcc_lo
	v_xor3_b32 v11, v61, v11, v62
	v_cndmask_b32_e64 v61, v29, v89, s5
	s_delay_alu instid0(VALU_DEP_3) | instskip(NEXT) | instid1(VALU_DEP_2)
	v_xor_b32_e32 v5, v6, v5
	v_dual_mul_f32 v62, v61, v61 :: v_dual_bitop2_b32 v10, v6, v11 bitop3:0x14
	v_cndmask_b32_e64 v6, v88, v90, s5
	s_delay_alu instid0(VALU_DEP_2) | instskip(NEXT) | instid1(VALU_DEP_4)
	v_cndmask_b32_e64 v11, 0x7fc00000, v10, s4
	v_cndmask_b32_e64 v10, 0x7fc00000, v5, s4
	s_delay_alu instid0(VALU_DEP_4) | instskip(NEXT) | instid1(VALU_DEP_2)
	v_fmaak_f32 v5, s36, v62, 0x3c0881c4
	v_pk_mul_f32 v[54:55], v[16:17], v[10:11] op_sel_hi:[0,1] neg_lo:[1,0]
	s_delay_alu instid0(VALU_DEP_2) | instskip(NEXT) | instid1(VALU_DEP_1)
	v_dual_fmaak_f32 v5, v62, v5, 0xbe2aaa9d :: v_dual_mov_b32 v10, v59
	v_dual_mov_b32 v11, v61 :: v_dual_mul_f32 v63, v62, v5
	v_fmaak_f32 v5, s38, v62, 0xbab64f3b
	s_delay_alu instid0(VALU_DEP_1) | instskip(NEXT) | instid1(VALU_DEP_1)
	v_fmaak_f32 v5, v62, v5, 0x3d2aabf7
	v_fmaak_f32 v60, v62, v5, 0xbf000004
	v_and_b32_e32 v5, 1, v6
	s_delay_alu instid0(VALU_DEP_2) | instskip(NEXT) | instid1(VALU_DEP_2)
	v_pk_fma_f32 v[58:59], v[60:61], v[62:63], v[10:11]
	v_cmp_eq_u32_e32 vcc_lo, 0, v5
	v_lshlrev_b32_e32 v5, 30, v6
	v_pk_mul_f32 v[60:61], v[42:43], v[42:43]
	s_delay_alu instid0(VALU_DEP_4) | instskip(NEXT) | instid1(VALU_DEP_3)
	v_cndmask_b32_e32 v6, v58, v59, vcc_lo
	v_and_b32_e32 v5, 0x80000000, v5
	v_cndmask_b32_e64 v10, -v59, v58, vcc_lo
	s_delay_alu instid0(VALU_DEP_2) | instskip(NEXT) | instid1(VALU_DEP_2)
	v_bitop3_b32 v3, v5, v18, v3 bitop3:0x36
	v_dual_mov_b32 v18, v16 :: v_dual_bitop2_b32 v5, v5, v10 bitop3:0x14
	s_delay_alu instid0(VALU_DEP_1) | instskip(NEXT) | instid1(VALU_DEP_1)
	v_cndmask_b32_e64 v10, 0x7fc00000, v5, s0
	v_dual_mov_b32 v13, v10 :: v_dual_bitop2_b32 v3, v3, v6 bitop3:0x14
	s_delay_alu instid0(VALU_DEP_1) | instskip(NEXT) | instid1(VALU_DEP_1)
	v_cndmask_b32_e64 v11, 0x7fc00000, v3, s0
	v_mov_b32_e32 v12, v11
	v_pk_mul_f32 v[62:63], v[14:15], v[10:11] op_sel:[1,0]
	s_delay_alu instid0(VALU_DEP_2) | instskip(SKIP_1) | instid1(VALU_DEP_2)
	v_pk_mul_f32 v[64:65], v[14:15], v[12:13] op_sel_hi:[0,1]
	v_mov_b32_e32 v13, v75
	v_pk_fma_f32 v[58:59], v[14:15], v[10:11], v[64:65] op_sel:[1,0,0] neg_lo:[0,0,1] neg_hi:[0,0,1]
	v_dual_mov_b32 v10, v61 :: v_dual_mov_b32 v11, v41
	s_delay_alu instid0(VALU_DEP_1) | instskip(SKIP_1) | instid1(VALU_DEP_2)
	v_pk_add_f32 v[70:71], v[10:11], v[18:19]
	v_mov_b64_e32 v[10:11], 0x40490fdb40000000
	v_bfi_b32 v5, 0x7fffffff, 0, v71
	v_frexp_mant_f32_e64 v6, |v71|
	v_cmp_class_f32_e64 s3, v71, 0x1f8
	s_delay_alu instid0(VALU_DEP_4) | instskip(SKIP_1) | instid1(VALU_DEP_4)
	v_pk_mul_f32 v[10:11], v[2:3], v[10:11] op_sel_hi:[0,1]
	v_and_b32_e32 v92, 0x80000000, v71
	v_ldexp_f32 v87, v6, 12
	s_delay_alu instid0(VALU_DEP_3) | instskip(SKIP_1) | instid1(VALU_DEP_2)
	v_pk_mul_f32 v[2:3], v[2:3], v[10:11] op_sel_hi:[0,1]
	v_cvt_f64_f32_e64 v[10:11], |v71|
	v_cmp_eq_f32_e64 s0, |v71|, |v3|
	v_fma_f32 v94, 0.5, v3, v19
	v_cmp_o_f32_e64 s2, v3, v3
	v_cmp_gt_f32_e64 s13, |v71|, |v3|
	v_cmp_eq_f32_e64 s1, 0, v3
	v_cndmask_b32_e64 v58, v71, v5, s0
	v_and_b32_e32 v95, 0x7fffffff, v94
	s_and_b32 s2, s2, s3
	v_mul_f32_e32 v93, 0.5, v3
	v_cmp_eq_f32_e64 vcc_lo, |v70|, |v2|
	v_cmp_gt_f32_e64 s14, |v70|, |v2|
	v_and_or_b32 v74, v95, s33, 0x800000
	v_fmac_f32_e32 v19, -0.5, v3
	s_delay_alu instid0(VALU_DEP_2) | instskip(NEXT) | instid1(VALU_DEP_2)
	v_mul_u64_e32 v[72:73], s[34:35], v[74:75]
	v_cmp_gt_f32_e64 s9, 0x48000000, |v19|
	v_frexp_exp_i32_f64_e32 v5, v[10:11]
	v_cvt_f64_f32_e64 v[10:11], |v3|
	s_delay_alu instid0(VALU_DEP_1) | instskip(SKIP_2) | instid1(VALU_DEP_2)
	v_frexp_exp_i32_f64_e32 v6, v[10:11]
	v_frexp_mant_f32_e64 v10, |v3|
	v_mov_b32_e32 v11, v75
	v_ldexp_f32 v89, v10, 1
	v_mov_b32_e32 v10, v73
	s_delay_alu instid0(VALU_DEP_2) | instskip(NEXT) | instid1(VALU_DEP_1)
	v_rcp_f32_e32 v91, v89
	v_mad_nc_u64_u32 v[10:11], 0x3c439041, v74, v[10:11]
	s_delay_alu instid0(VALU_DEP_1) | instskip(NEXT) | instid1(VALU_DEP_1)
	v_mov_b32_e32 v12, v11
	v_mad_nc_u64_u32 v[12:13], 0xdb629599, v74, v[12:13]
	v_dual_sub_nc_u32 v90, v5, v6 :: v_dual_lshrrev_b32 v5, 23, v95
	v_add_nc_u32_e32 v88, -1, v6
	s_delay_alu instid0(VALU_DEP_2) | instskip(NEXT) | instid1(VALU_DEP_4)
	v_cmp_lt_i32_e64 s0, 12, v90
	v_mov_b32_e32 v76, v13
	s_delay_alu instid0(VALU_DEP_1) | instskip(NEXT) | instid1(VALU_DEP_1)
	v_mad_nc_u64_u32 v[76:77], 0xf534ddc0, v74, v[76:77]
	v_dual_mov_b32 v78, v77 :: v_dual_mov_b32 v77, v75
	s_delay_alu instid0(VALU_DEP_1) | instskip(NEXT) | instid1(VALU_DEP_1)
	v_mad_nc_u64_u32 v[78:79], 0xfc2757d1, v74, v[78:79]
	v_dual_mov_b32 v96, v79 :: v_dual_add_nc_u32 v5, 0xffffff88, v5
	s_delay_alu instid0(VALU_DEP_1) | instskip(SKIP_1) | instid1(VALU_DEP_3)
	v_cmp_lt_u32_e64 s3, 63, v5
	v_dual_mov_b32 v99, v75 :: v_dual_mov_b32 v79, v75
	v_mad_nc_u64_u32 v[96:97], 0x4e441529, v74, v[96:97]
	s_delay_alu instid0(VALU_DEP_3) | instskip(NEXT) | instid1(VALU_DEP_1)
	v_cndmask_b32_e64 v6, 0, 0xffffffc0, s3
	v_dual_cndmask_b32 v10, v76, v10, s3 :: v_dual_add_nc_u32 v5, v6, v5
	v_cmp_gt_f32_e64 s8, 0x48000000, |v94|
	s_delay_alu instid0(VALU_DEP_2) | instskip(SKIP_1) | instid1(VALU_DEP_2)
	v_cmp_lt_u32_e64 s4, 31, v5
	v_dual_mov_b32 v98, v97 :: v_dual_mov_b32 v97, v75
	v_cndmask_b32_e64 v6, 0, 0xffffffe0, s4
	s_delay_alu instid0(VALU_DEP_2) | instskip(NEXT) | instid1(VALU_DEP_2)
	v_mad_nc_u64_u32 v[98:99], 0xa2f9836e, v74, v[98:99]
	v_add_nc_u32_e32 v5, v6, v5
	s_delay_alu instid0(VALU_DEP_1) | instskip(NEXT) | instid1(VALU_DEP_3)
	v_cmp_lt_u32_e64 s5, 31, v5
	v_dual_cndmask_b32 v11, v98, v78, s3 :: v_dual_cndmask_b32 v18, v99, v96, s3
	v_mov_b32_e32 v99, v75
	s_delay_alu instid0(VALU_DEP_3) | instskip(NEXT) | instid1(VALU_DEP_1)
	v_cndmask_b32_e64 v6, 0, 0xffffffe0, s5
	v_dual_add_nc_u32 v5, v6, v5 :: v_dual_cndmask_b32 v6, v96, v76, s3
	s_delay_alu instid0(VALU_DEP_1) | instskip(NEXT) | instid1(VALU_DEP_2)
	v_cmp_eq_u32_e64 s6, 0, v5
	v_dual_cndmask_b32 v13, v11, v6, s4 :: v_dual_cndmask_b32 v11, v18, v11, s4
	v_dual_cndmask_b32 v18, v78, v12, s3 :: v_dual_sub_nc_u32 v5, 32, v5
	v_cndmask_b32_e64 v12, v12, v72, s3
	v_and_b32_e32 v72, 0x7fffffff, v19
	s_delay_alu instid0(VALU_DEP_3) | instskip(SKIP_1) | instid1(VALU_DEP_3)
	v_dual_cndmask_b32 v11, v11, v13, s5 :: v_dual_cndmask_b32 v6, v6, v18, s4
	v_cmp_class_f32_e64 s3, v94, 0x1f8
	v_lshrrev_b32_e32 v3, 23, v72
	v_and_or_b32 v74, v72, s33, 0x800000
	s_delay_alu instid0(VALU_DEP_4) | instskip(SKIP_3) | instid1(VALU_DEP_4)
	v_cndmask_b32_e64 v13, v13, v6, s5
	v_cndmask_b32_e64 v18, v18, v10, s4
	;; [unrolled: 1-line block ×3, first 2 shown]
	v_add_nc_u32_e32 v3, 0xffffff88, v3
	v_alignbit_b32 v29, v11, v13, v5
	s_delay_alu instid0(VALU_DEP_2) | instskip(NEXT) | instid1(VALU_DEP_2)
	v_cmp_lt_u32_e64 s4, 63, v3
	v_dual_cndmask_b32 v11, v29, v11, s6 :: v_dual_cndmask_b32 v6, v6, v18, s5
	s_delay_alu instid0(VALU_DEP_1) | instskip(NEXT) | instid1(VALU_DEP_2)
	v_lshrrev_b32_e32 v41, 29, v11
	v_alignbit_b32 v29, v13, v6, v5
	v_bfe_u32 v63, v11, 29, 1
	s_delay_alu instid0(VALU_DEP_1) | instskip(NEXT) | instid1(VALU_DEP_1)
	v_dual_cndmask_b32 v13, v29, v13, s6 :: v_dual_sub_nc_u32 v65, 0, v63
	v_alignbit_b32 v29, v11, v13, 30
	s_delay_alu instid0(VALU_DEP_1) | instskip(NEXT) | instid1(VALU_DEP_1)
	v_xor_b32_e32 v29, v29, v65
	v_clz_i32_u32_e32 v12, v29
	s_delay_alu instid0(VALU_DEP_1) | instskip(SKIP_1) | instid1(VALU_DEP_1)
	v_min_u32_e32 v12, 32, v12
	v_cndmask_b32_e64 v10, v18, v10, s5
	v_alignbit_b32 v5, v6, v10, v5
	s_delay_alu instid0(VALU_DEP_1) | instskip(NEXT) | instid1(VALU_DEP_1)
	v_cndmask_b32_e64 v5, v5, v6, s6
	v_alignbit_b32 v6, v13, v5, 30
	s_delay_alu instid0(VALU_DEP_1) | instskip(SKIP_1) | instid1(VALU_DEP_2)
	v_dual_sub_nc_u32 v13, 31, v12 :: v_dual_bitop2_b32 v6, v6, v65 bitop3:0x14
	v_alignbit_b32 v5, v5, v10, 30
	v_alignbit_b32 v18, v29, v6, v13
	s_delay_alu instid0(VALU_DEP_2) | instskip(NEXT) | instid1(VALU_DEP_1)
	v_xor_b32_e32 v5, v5, v65
	v_alignbit_b32 v5, v6, v5, v13
	s_delay_alu instid0(VALU_DEP_1) | instskip(NEXT) | instid1(VALU_DEP_1)
	v_alignbit_b32 v6, v18, v5, 9
	v_clz_i32_u32_e32 v10, v6
	s_delay_alu instid0(VALU_DEP_1) | instskip(NEXT) | instid1(VALU_DEP_1)
	v_min_u32_e32 v10, 32, v10
	v_not_b32_e32 v13, v10
	v_add_lshl_u32 v10, v10, v12, 23
	v_lshlrev_b32_e32 v12, 23, v12
	s_delay_alu instid0(VALU_DEP_3) | instskip(SKIP_1) | instid1(VALU_DEP_1)
	v_alignbit_b32 v5, v6, v5, v13
	v_lshlrev_b32_e32 v6, 31, v41
	v_or_b32_e32 v13, 0x33000000, v6
	s_delay_alu instid0(VALU_DEP_3) | instskip(NEXT) | instid1(VALU_DEP_2)
	v_dual_lshrrev_b32 v5, 9, v5 :: v_dual_bitop2_b32 v6, 0.5, v6 bitop3:0x54
	v_dual_mov_b32 v13, v75 :: v_dual_sub_nc_u32 v10, v13, v10
	s_delay_alu instid0(VALU_DEP_2) | instskip(NEXT) | instid1(VALU_DEP_2)
	v_sub_nc_u32_e32 v6, v6, v12
	v_dual_lshrrev_b32 v10, 9, v18 :: v_dual_bitop2_b32 v5, v10, v5 bitop3:0x54
	s_delay_alu instid0(VALU_DEP_1) | instskip(NEXT) | instid1(VALU_DEP_1)
	v_or_b32_e32 v6, v10, v6
	v_mul_f32_e32 v10, 0x3fc90fda, v6
	s_delay_alu instid0(VALU_DEP_1) | instskip(NEXT) | instid1(VALU_DEP_1)
	v_fma_f32 v12, 0x3fc90fda, v6, -v10
	v_fmac_f32_e32 v12, 0x33a22168, v6
	s_delay_alu instid0(VALU_DEP_1) | instskip(NEXT) | instid1(VALU_DEP_1)
	v_dual_fmac_f32 v12, 0x3fc90fda, v5 :: v_dual_lshrrev_b32 v5, 30, v11
	v_add_nc_u32_e32 v29, v63, v5
	v_mul_f32_e64 v5, 0x3f22f983, |v94|
	s_delay_alu instid0(VALU_DEP_1) | instskip(NEXT) | instid1(VALU_DEP_1)
	v_rndne_f32_e32 v5, v5
	v_fma_f32 v41, 0xbfc90fda, v5, |v94|
	v_cvt_i32_f32_e32 v63, v5
	s_delay_alu instid0(VALU_DEP_2) | instskip(NEXT) | instid1(VALU_DEP_1)
	v_fmac_f32_e32 v41, 0xb3a22168, v5
	v_fmac_f32_e32 v41, 0xa7c234c4, v5
	v_cndmask_b32_e64 v5, 0, 0xffffffc0, s4
	s_delay_alu instid0(VALU_DEP_1) | instskip(NEXT) | instid1(VALU_DEP_1)
	v_add_nc_u32_e32 v3, v5, v3
	v_cmp_lt_u32_e64 s5, 31, v3
	s_delay_alu instid0(VALU_DEP_1) | instskip(NEXT) | instid1(VALU_DEP_1)
	v_cndmask_b32_e64 v5, 0, 0xffffffe0, s5
	v_dual_add_f32 v18, v10, v12 :: v_dual_add_nc_u32 v3, v5, v3
	v_mul_u64_e32 v[10:11], s[34:35], v[74:75]
	s_delay_alu instid0(VALU_DEP_2) | instskip(NEXT) | instid1(VALU_DEP_1)
	v_cmp_lt_u32_e64 s6, 31, v3
	v_cndmask_b32_e64 v5, 0, 0xffffffe0, s6
	s_delay_alu instid0(VALU_DEP_1) | instskip(NEXT) | instid1(VALU_DEP_1)
	v_add_nc_u32_e32 v3, v5, v3
	v_cmp_eq_u32_e64 s7, 0, v3
	v_dual_mov_b32 v12, v11 :: v_dual_sub_nc_u32 v3, 32, v3
	s_delay_alu instid0(VALU_DEP_1) | instskip(NEXT) | instid1(VALU_DEP_1)
	v_mad_nc_u64_u32 v[12:13], 0x3c439041, v74, v[12:13]
	v_mov_b32_e32 v76, v13
	s_delay_alu instid0(VALU_DEP_1) | instskip(NEXT) | instid1(VALU_DEP_1)
	v_mad_nc_u64_u32 v[76:77], 0xdb629599, v74, v[76:77]
	v_dual_mov_b32 v78, v77 :: v_dual_cndmask_b32 v10, v76, v10, s4
	s_delay_alu instid0(VALU_DEP_1) | instskip(NEXT) | instid1(VALU_DEP_1)
	v_mad_nc_u64_u32 v[78:79], 0xf534ddc0, v74, v[78:79]
	v_dual_mov_b32 v96, v79 :: v_dual_cndmask_b32 v12, v78, v12, s4
	s_delay_alu instid0(VALU_DEP_1) | instskip(NEXT) | instid1(VALU_DEP_2)
	v_mad_nc_u64_u32 v[96:97], 0xfc2757d1, v74, v[96:97]
	v_dual_mov_b32 v101, v75 :: v_dual_cndmask_b32 v10, v12, v10, s5
	s_delay_alu instid0(VALU_DEP_2) | instskip(NEXT) | instid1(VALU_DEP_1)
	v_mov_b32_e32 v98, v97
	v_mad_nc_u64_u32 v[98:99], 0x4e441529, v74, v[98:99]
	s_delay_alu instid0(VALU_DEP_1) | instskip(NEXT) | instid1(VALU_DEP_1)
	v_dual_cndmask_b32 v5, v98, v78, s4 :: v_dual_mov_b32 v100, v99
	v_mad_nc_u64_u32 v[100:101], 0xa2f9836e, v74, v[100:101]
	s_delay_alu instid0(VALU_DEP_1) | instskip(SKIP_1) | instid1(VALU_DEP_2)
	v_dual_cndmask_b32 v6, v100, v96, s4 :: v_dual_cndmask_b32 v13, v101, v98, s4
	v_and_b32_e32 v101, 0x80000000, v70
	v_dual_cndmask_b32 v11, v6, v5, s5 :: v_dual_cndmask_b32 v6, v13, v6, s5
	v_cndmask_b32_e64 v13, v96, v76, s4
	v_cmp_class_f32_e64 s4, v19, 0x1f8
	s_delay_alu instid0(VALU_DEP_2) | instskip(NEXT) | instid1(VALU_DEP_1)
	v_dual_cndmask_b32 v6, v6, v11, s6 :: v_dual_cndmask_b32 v5, v5, v13, s5
	v_cndmask_b32_e64 v11, v11, v5, s6
	s_delay_alu instid0(VALU_DEP_1) | instskip(NEXT) | instid1(VALU_DEP_1)
	v_alignbit_b32 v65, v6, v11, v3
	v_cndmask_b32_e64 v6, v65, v6, s7
	s_delay_alu instid0(VALU_DEP_1) | instskip(NEXT) | instid1(VALU_DEP_1)
	v_dual_cndmask_b32 v13, v13, v12, s5 :: v_dual_lshrrev_b32 v71, 29, v6
	v_cndmask_b32_e64 v5, v5, v13, s6
	v_bfe_u32 v73, v6, 29, 1
	v_cndmask_b32_e64 v10, v13, v10, s6
	v_cmp_eq_f32_e64 s6, 0, v2
	s_delay_alu instid0(VALU_DEP_4) | instskip(NEXT) | instid1(VALU_DEP_4)
	v_alignbit_b32 v65, v11, v5, v3
	v_sub_nc_u32_e32 v74, 0, v73
	s_delay_alu instid0(VALU_DEP_4) | instskip(NEXT) | instid1(VALU_DEP_1)
	v_alignbit_b32 v3, v5, v10, v3
	v_dual_cndmask_b32 v11, v65, v11, s7 :: v_dual_cndmask_b32 v3, v3, v5, s7
	v_cmp_class_f32_e64 s7, v70, 0x1f8
	s_delay_alu instid0(VALU_DEP_2) | instskip(NEXT) | instid1(VALU_DEP_3)
	v_alignbit_b32 v65, v6, v11, 30
	v_alignbit_b32 v5, v11, v3, 30
	;; [unrolled: 1-line block ×3, first 2 shown]
	s_delay_alu instid0(VALU_DEP_3) | instskip(NEXT) | instid1(VALU_DEP_3)
	v_xor_b32_e32 v65, v65, v74
	v_xor_b32_e32 v5, v5, v74
	s_delay_alu instid0(VALU_DEP_3) | instskip(NEXT) | instid1(VALU_DEP_3)
	v_xor_b32_e32 v3, v3, v74
	v_clz_i32_u32_e32 v11, v65
	s_delay_alu instid0(VALU_DEP_1) | instskip(NEXT) | instid1(VALU_DEP_1)
	v_min_u32_e32 v11, 32, v11
	v_sub_nc_u32_e32 v12, 31, v11
	s_delay_alu instid0(VALU_DEP_1) | instskip(SKIP_1) | instid1(VALU_DEP_1)
	v_alignbit_b32 v13, v65, v5, v12
	v_alignbit_b32 v3, v5, v3, v12
	v_alignbit_b32 v5, v13, v3, 9
	s_delay_alu instid0(VALU_DEP_1) | instskip(NEXT) | instid1(VALU_DEP_1)
	v_clz_i32_u32_e32 v10, v5
	v_min_u32_e32 v10, 32, v10
	s_delay_alu instid0(VALU_DEP_1) | instskip(SKIP_1) | instid1(VALU_DEP_2)
	v_not_b32_e32 v12, v10
	v_add_lshl_u32 v10, v10, v11, 23
	v_alignbit_b32 v3, v5, v3, v12
	v_lshlrev_b32_e32 v5, 31, v71
	v_alignbit_b32 v71, v115, v113, 30
	s_delay_alu instid0(VALU_DEP_3) | instskip(NEXT) | instid1(VALU_DEP_3)
	v_lshrrev_b32_e32 v3, 9, v3
	v_or_b32_e32 v12, 0x33000000, v5
	s_delay_alu instid0(VALU_DEP_1) | instskip(NEXT) | instid1(VALU_DEP_1)
	v_dual_sub_nc_u32 v10, v12, v10 :: v_dual_bitop2_b32 v5, 0.5, v5 bitop3:0x54
	v_dual_lshrrev_b32 v10, 9, v13 :: v_dual_bitop2_b32 v3, v10, v3 bitop3:0x54
	v_lshlrev_b32_e32 v11, 23, v11
	s_delay_alu instid0(VALU_DEP_1) | instskip(NEXT) | instid1(VALU_DEP_1)
	v_sub_nc_u32_e32 v5, v5, v11
	v_or_b32_e32 v5, v10, v5
	s_delay_alu instid0(VALU_DEP_1) | instskip(NEXT) | instid1(VALU_DEP_1)
	v_mul_f32_e32 v10, 0x3fc90fda, v5
	v_fma_f32 v11, 0x3fc90fda, v5, -v10
	s_delay_alu instid0(VALU_DEP_1) | instskip(SKIP_1) | instid1(VALU_DEP_2)
	v_fmac_f32_e32 v11, 0x33a22168, v5
	v_frexp_mant_f32_e64 v5, |v70|
	v_fmac_f32_e32 v11, 0x3fc90fda, v3
	v_lshrrev_b32_e32 v3, 30, v6
	s_delay_alu instid0(VALU_DEP_3) | instskip(SKIP_1) | instid1(VALU_DEP_4)
	v_ldexp_f32 v96, v5, 12
	v_frexp_mant_f32_e64 v6, |v2|
	v_add_f32_e32 v65, v10, v11
	v_cvt_f64_f32_e64 v[10:11], |v70|
	v_add_nc_u32_e32 v117, v73, v3
	v_mul_f32_e64 v3, 0x3f22f983, |v19|
	v_ldexp_f32 v98, v6, 1
	v_bfe_u32 v6, v116, 29, 1
	s_delay_alu instid0(VALU_DEP_3) | instskip(NEXT) | instid1(VALU_DEP_3)
	v_rndne_f32_e32 v3, v3
	v_rcp_f32_e32 v100, v98
	s_delay_alu instid0(VALU_DEP_1) | instskip(SKIP_1) | instid1(VALU_DEP_2)
	v_fma_f32 v118, 0xbfc90fda, v3, |v19|
	v_cvt_i32_f32_e32 v119, v3
	v_fmac_f32_e32 v118, 0xb3a22168, v3
	s_delay_alu instid0(VALU_DEP_1) | instskip(SKIP_1) | instid1(VALU_DEP_1)
	v_fmac_f32_e32 v118, 0xa7c234c4, v3
	v_bfi_b32 v3, 0x7fffffff, 0, v70
	v_cndmask_b32_e32 v73, v70, v3, vcc_lo
	v_cmp_o_f32_e32 vcc_lo, v2, v2
	v_bfe_u32 v70, v115, 29, 1
	v_frexp_exp_i32_f64_e32 v3, v[10:11]
	v_cvt_f64_f32_e64 v[10:11], |v2|
	v_sub_f32_e32 v2, 1.0, v61
	s_and_b32 s7, vcc_lo, s7
	v_cmp_gt_f32_e64 vcc_lo, 0x48000000, |v103|
	s_delay_alu instid0(VALU_DEP_2) | instskip(NEXT) | instid1(VALU_DEP_4)
	v_dual_mul_f32 v102, v2, v16 :: v_dual_lshrrev_b32 v2, 29, v115
	v_frexp_exp_i32_f64_e32 v5, v[10:11]
	v_alignbit_b32 v11, v113, v114, 30
	s_delay_alu instid0(VALU_DEP_2) | instskip(SKIP_3) | instid1(VALU_DEP_4)
	v_dual_add_nc_u32 v97, -1, v5 :: v_dual_sub_nc_u32 v99, v3, v5
	v_dual_lshrrev_b32 v3, 29, v116 :: v_dual_sub_nc_u32 v5, 0, v6
	v_alignbit_b32 v116, v116, v110, 30
	v_sub_nc_u32_e32 v115, 0, v70
	v_cmp_lt_i32_e64 s5, 12, v99
	s_delay_alu instid0(VALU_DEP_3) | instskip(NEXT) | instid1(VALU_DEP_3)
	v_dual_add_nc_u32 v6, v6, v108 :: v_dual_bitop2_b32 v116, v116, v5 bitop3:0x14
	v_xor_b32_e32 v120, v71, v115
	s_delay_alu instid0(VALU_DEP_2) | instskip(NEXT) | instid1(VALU_DEP_3)
	v_dual_cndmask_b32 v6, v6, v105, s12 :: v_dual_bitop2_b32 v74, v109, v115 bitop3:0x14
	v_clz_i32_u32_e32 v10, v116
	s_delay_alu instid0(VALU_DEP_1) | instskip(SKIP_3) | instid1(VALU_DEP_3)
	v_min_u32_e32 v71, 32, v10
	v_alignbit_b32 v10, v110, v111, 30
	v_xor_b32_e32 v112, v112, v5
	v_xor_b32_e32 v110, v11, v115
	v_dual_sub_nc_u32 v11, 31, v71 :: v_dual_bitop2_b32 v111, v10, v5 bitop3:0x14
	v_clz_i32_u32_e32 v5, v120
	s_delay_alu instid0(VALU_DEP_2) | instskip(NEXT) | instid1(VALU_DEP_2)
	v_alignbit_b32 v12, v116, v111, v11
	v_min_u32_e32 v5, 32, v5
	v_alignbit_b32 v11, v111, v112, v11
	s_delay_alu instid0(VALU_DEP_2) | instskip(NEXT) | instid1(VALU_DEP_2)
	v_sub_nc_u32_e32 v10, 31, v5
	v_alignbit_b32 v76, v12, v11, 9
	s_delay_alu instid0(VALU_DEP_2) | instskip(SKIP_1) | instid1(VALU_DEP_3)
	v_alignbit_b32 v13, v120, v110, v10
	v_alignbit_b32 v10, v110, v74, v10
	v_clz_i32_u32_e32 v77, v76
	s_delay_alu instid0(VALU_DEP_2) | instskip(NEXT) | instid1(VALU_DEP_2)
	v_alignbit_b32 v74, v13, v10, 9
	v_min_u32_e32 v77, 32, v77
	s_delay_alu instid0(VALU_DEP_2) | instskip(NEXT) | instid1(VALU_DEP_2)
	v_clz_i32_u32_e32 v78, v74
	v_xor_b32_e32 v79, -1, v77
	v_add_lshl_u32 v77, v77, v71, 23
	v_lshlrev_b32_e32 v71, 23, v71
	s_delay_alu instid0(VALU_DEP_4) | instskip(NEXT) | instid1(VALU_DEP_1)
	v_min_u32_e32 v78, 32, v78
	v_xor_b32_e32 v108, -1, v78
	v_add_lshl_u32 v78, v5, v78, 23
	v_lshlrev_b32_e32 v5, 23, v5
	s_delay_alu instid0(VALU_DEP_3) | instskip(SKIP_2) | instid1(VALU_DEP_1)
	v_alignbit_b32 v10, v74, v10, v108
	v_lshlrev_b32_e32 v74, 31, v3
	v_alignbit_b32 v11, v76, v11, v79
	v_dual_lshrrev_b32 v10, 9, v10 :: v_dual_lshrrev_b32 v11, 9, v11
	v_lshlrev_b32_e32 v76, 31, v2
	s_delay_alu instid0(VALU_DEP_4) | instskip(NEXT) | instid1(VALU_DEP_2)
	v_or_b32_e32 v2, 0x33000000, v74
	v_or_b32_e32 v3, 0x33000000, v76
	s_delay_alu instid0(VALU_DEP_1) | instskip(NEXT) | instid1(VALU_DEP_1)
	v_dual_sub_nc_u32 v2, v2, v77 :: v_dual_sub_nc_u32 v77, v3, v78
	v_or_b32_e32 v3, v2, v11
	v_or_b32_e32 v11, 0.5, v74
	s_delay_alu instid0(VALU_DEP_3) | instskip(SKIP_1) | instid1(VALU_DEP_3)
	v_dual_lshrrev_b32 v10, 9, v12 :: v_dual_bitop2_b32 v2, v77, v10 bitop3:0x54
	v_dual_lshrrev_b32 v12, 9, v13 :: v_dual_bitop2_b32 v13, 0.5, v76 bitop3:0x54
	v_sub_nc_u32_e32 v11, v11, v71
	s_delay_alu instid0(VALU_DEP_2) | instskip(NEXT) | instid1(VALU_DEP_2)
	v_dual_mov_b32 v71, v75 :: v_dual_sub_nc_u32 v5, v13, v5
	v_or_b32_e32 v11, v10, v11
	s_delay_alu instid0(VALU_DEP_2) | instskip(NEXT) | instid1(VALU_DEP_1)
	v_dual_add_nc_u32 v5, v70, v107 :: v_dual_bitop2_b32 v10, v12, v5 bitop3:0x54
	v_pk_mul_f32 v[12:13], v[10:11], s[48:49] op_sel_hi:[1,0]
	s_delay_alu instid0(VALU_DEP_1) | instskip(NEXT) | instid1(VALU_DEP_1)
	v_pk_fma_f32 v[76:77], v[10:11], s[48:49], v[12:13] op_sel_hi:[1,0,1] neg_lo:[0,0,1] neg_hi:[0,0,1]
	v_pk_fma_f32 v[10:11], v[10:11], s[50:51], v[76:77] op_sel_hi:[1,0,1]
	v_mov_b32_e32 v77, v75
	s_delay_alu instid0(VALU_DEP_2) | instskip(SKIP_1) | instid1(VALU_DEP_2)
	v_pk_fma_f32 v[2:3], v[2:3], s[48:49], v[10:11] op_sel_hi:[1,0,1]
	v_pk_fma_f32 v[10:11], v[68:69], s[46:47], v[66:67] op_sel_hi:[1,0,1]
	v_pk_add_f32 v[2:3], v[12:13], v[2:3]
	s_delay_alu instid0(VALU_DEP_2) | instskip(NEXT) | instid1(VALU_DEP_1)
	v_pk_fma_f32 v[10:11], v[68:69], s[44:45], v[10:11] op_sel_hi:[1,0,1]
	v_pk_fma_f32 v[10:11], v[68:69], s[42:43], v[10:11] op_sel_hi:[1,0,1]
	v_mov_b32_e32 v69, v75
	s_delay_alu instid0(VALU_DEP_2) | instskip(SKIP_1) | instid1(VALU_DEP_2)
	v_dual_cndmask_b32 v3, v3, v11, s12 :: v_dual_bitop2_b32 v12, 1, v6 bitop3:0x40
	v_lshlrev_b32_e32 v6, 30, v6
	v_cmp_eq_u32_e64 s12, 0, v12
	s_delay_alu instid0(VALU_DEP_2) | instskip(NEXT) | instid1(VALU_DEP_1)
	v_and_b32_e32 v6, 0x80000000, v6
	v_dual_cndmask_b32 v5, v5, v106, vcc_lo :: v_dual_bitop2_b32 v6, v6, v104 bitop3:0x14
	v_cndmask_b32_e32 v2, v2, v10, vcc_lo
	s_delay_alu instid0(VALU_DEP_1) | instskip(NEXT) | instid1(VALU_DEP_1)
	v_pk_mul_f32 v[10:11], v[2:3], v[2:3]
	v_pk_fma_f32 v[12:13], v[10:11], s[36:37], s[56:57] op_sel_hi:[1,0,0]
	s_delay_alu instid0(VALU_DEP_1) | instskip(NEXT) | instid1(VALU_DEP_1)
	v_pk_fma_f32 v[12:13], v[10:11], v[12:13], s[58:59] op_sel_hi:[1,1,0]
	v_pk_mul_f32 v[12:13], v[10:11], v[12:13]
	s_delay_alu instid0(VALU_DEP_1) | instskip(SKIP_1) | instid1(VALU_DEP_1)
	v_pk_fma_f32 v[2:3], v[2:3], v[12:13], v[2:3]
	v_pk_fma_f32 v[12:13], v[10:11], s[38:39], s[54:55] op_sel_hi:[1,0,0]
	v_pk_fma_f32 v[12:13], v[10:11], v[12:13], s[52:53] op_sel_hi:[1,1,0]
	s_delay_alu instid0(VALU_DEP_1) | instskip(NEXT) | instid1(VALU_DEP_1)
	v_pk_fma_f32 v[12:13], v[10:11], v[12:13], s[24:25] op_sel_hi:[1,1,0]
	v_pk_fma_f32 v[10:11], v[10:11], v[12:13], 1.0 op_sel_hi:[1,1,0]
	v_dual_lshlrev_b32 v5, 30, v5 :: v_dual_bitop2_b32 v12, 1, v5 bitop3:0x40
	v_mov_b32_e32 v13, v75
	s_delay_alu instid0(VALU_DEP_3) | instskip(NEXT) | instid1(VALU_DEP_3)
	v_cndmask_b32_e64 v3, v11, v3, s12
	v_cmp_eq_u32_e32 vcc_lo, 0, v12
	s_delay_alu instid0(VALU_DEP_4) | instskip(NEXT) | instid1(VALU_DEP_3)
	v_and_b32_e32 v5, 0x80000000, v5
	v_xor_b32_e32 v3, v6, v3
	s_delay_alu instid0(VALU_DEP_2) | instskip(NEXT) | instid1(VALU_DEP_1)
	v_dual_cndmask_b32 v2, v10, v2, vcc_lo :: v_dual_bitop2_b32 v5, v5, v103 bitop3:0x14
	v_xor_b32_e32 v2, v5, v2
	v_div_scale_f32 v5, null, v60, v60, v15
	s_delay_alu instid0(VALU_DEP_1) | instskip(SKIP_1) | instid1(TRANS32_DEP_1)
	v_rcp_f32_e32 v6, v5
	v_nop
	v_fma_f32 v10, -v5, v6, 1.0
	s_delay_alu instid0(VALU_DEP_1) | instskip(SKIP_1) | instid1(VALU_DEP_1)
	v_fmac_f32_e32 v6, v10, v6
	v_div_scale_f32 v10, vcc_lo, v15, v60, v15
	v_mul_f32_e32 v11, v10, v6
	s_delay_alu instid0(VALU_DEP_1) | instskip(NEXT) | instid1(VALU_DEP_1)
	v_fma_f32 v12, -v5, v11, v10
	v_fmac_f32_e32 v11, v12, v6
	s_delay_alu instid0(VALU_DEP_1) | instskip(NEXT) | instid1(VALU_DEP_1)
	v_dual_fma_f32 v5, -v5, v11, v10 :: v_dual_bitop2_b32 v2, v2, v66 bitop3:0x14
	v_cndmask_b32_e64 v2, 0x7fc00000, v2, s10
	s_delay_alu instid0(VALU_DEP_2) | instskip(NEXT) | instid1(VALU_DEP_1)
	v_div_fmas_f32 v5, v5, v6, v11
	v_div_fixup_f32 v109, v5, v60, v15
	v_div_scale_f32 v5, null, v61, v61, v14
	s_delay_alu instid0(VALU_DEP_1) | instskip(SKIP_1) | instid1(TRANS32_DEP_1)
	v_rcp_f32_e32 v6, v5
	v_nop
	v_fma_f32 v10, -v5, v6, 1.0
	s_delay_alu instid0(VALU_DEP_1) | instskip(SKIP_1) | instid1(VALU_DEP_2)
	v_dual_fmac_f32 v6, v10, v6 :: v_dual_bitop2_b32 v3, v3, v67 bitop3:0x14
	v_div_scale_f32 v10, vcc_lo, v14, v61, v14
	v_cndmask_b32_e64 v3, 0x7fc00000, v3, s11
	s_delay_alu instid0(VALU_DEP_2) | instskip(NEXT) | instid1(VALU_DEP_2)
	v_mul_f32_e32 v11, v10, v6
	v_pk_fma_f32 v[2:3], v[42:43], v[2:3], v[14:15]
	v_and_b32_e32 v42, 0x7fffffff, v109
	s_delay_alu instid0(VALU_DEP_3) | instskip(NEXT) | instid1(VALU_DEP_1)
	v_fma_f32 v12, -v5, v11, v10
	v_fmac_f32_e32 v11, v12, v6
	s_delay_alu instid0(VALU_DEP_1) | instskip(NEXT) | instid1(VALU_DEP_1)
	v_fma_f32 v5, -v5, v11, v10
	v_div_fmas_f32 v5, v5, v6, v11
	v_mov_b32_e32 v11, v75
	s_delay_alu instid0(VALU_DEP_2) | instskip(NEXT) | instid1(VALU_DEP_1)
	v_div_fixup_f32 v110, v5, v61, v14
	v_and_b32_e32 v43, 0x7fffffff, v110
	s_delay_alu instid0(VALU_DEP_1) | instskip(SKIP_1) | instid1(VALU_DEP_2)
	v_and_or_b32 v74, v43, s33, 0x800000
	v_lshrrev_b32_e32 v5, 23, v43
	v_mul_u64_e32 v[66:67], s[34:35], v[74:75]
	s_delay_alu instid0(VALU_DEP_1) | instskip(NEXT) | instid1(VALU_DEP_1)
	v_mov_b32_e32 v10, v67
	v_mad_nc_u64_u32 v[10:11], 0x3c439041, v74, v[10:11]
	s_delay_alu instid0(VALU_DEP_1) | instskip(NEXT) | instid1(VALU_DEP_1)
	v_dual_mov_b32 v12, v11 :: v_dual_add_nc_u32 v5, 0xffffff88, v5
	v_cmp_lt_u32_e32 vcc_lo, 63, v5
	s_delay_alu instid0(VALU_DEP_2) | instskip(SKIP_1) | instid1(VALU_DEP_1)
	v_mad_nc_u64_u32 v[12:13], 0xdb629599, v74, v[12:13]
	v_cndmask_b32_e64 v6, 0, 0xffffffc0, vcc_lo
	v_add_nc_u32_e32 v5, v6, v5
	s_delay_alu instid0(VALU_DEP_1) | instskip(NEXT) | instid1(VALU_DEP_4)
	v_cmp_lt_u32_e64 s10, 31, v5
	v_mov_b32_e32 v68, v13
	s_delay_alu instid0(VALU_DEP_2) | instskip(NEXT) | instid1(VALU_DEP_2)
	v_cndmask_b32_e64 v6, 0, 0xffffffe0, s10
	v_mad_nc_u64_u32 v[68:69], 0xf534ddc0, v74, v[68:69]
	s_delay_alu instid0(VALU_DEP_2) | instskip(NEXT) | instid1(VALU_DEP_1)
	v_add_nc_u32_e32 v5, v6, v5
	v_cmp_lt_u32_e64 s11, 31, v5
	s_delay_alu instid0(VALU_DEP_3) | instskip(NEXT) | instid1(VALU_DEP_2)
	v_dual_mov_b32 v70, v69 :: v_dual_cndmask_b32 v10, v68, v10, vcc_lo
	v_cndmask_b32_e64 v6, 0, 0xffffffe0, s11
	s_delay_alu instid0(VALU_DEP_2) | instskip(NEXT) | instid1(VALU_DEP_2)
	v_mad_nc_u64_u32 v[70:71], 0xfc2757d1, v74, v[70:71]
	v_dual_mov_b32 v79, v75 :: v_dual_add_nc_u32 v5, v6, v5
	s_delay_alu instid0(VALU_DEP_1) | instskip(NEXT) | instid1(VALU_DEP_3)
	v_cmp_eq_u32_e64 s12, 0, v5
	v_dual_mov_b32 v76, v71 :: v_dual_sub_nc_u32 v5, 32, v5
	s_delay_alu instid0(VALU_DEP_1) | instskip(NEXT) | instid1(VALU_DEP_1)
	v_mad_nc_u64_u32 v[76:77], 0x4e441529, v74, v[76:77]
	v_dual_cndmask_b32 v6, v76, v68, vcc_lo :: v_dual_mov_b32 v78, v77
	v_mov_b32_e32 v77, v75
	s_delay_alu instid0(VALU_DEP_2) | instskip(SKIP_1) | instid1(VALU_DEP_1)
	v_mad_nc_u64_u32 v[78:79], 0xa2f9836e, v74, v[78:79]
	v_and_or_b32 v74, v42, s33, 0x800000
	v_mul_u64_e32 v[68:69], s[34:35], v[74:75]
	s_delay_alu instid0(VALU_DEP_3) | instskip(SKIP_1) | instid1(VALU_DEP_2)
	v_dual_cndmask_b32 v11, v78, v70 :: v_dual_cndmask_b32 v60, v79, v76
	v_mov_b32_e32 v79, v75
	v_dual_cndmask_b32 v13, v11, v6, s10 :: v_dual_cndmask_b32 v11, v60, v11, s10
	v_dual_cndmask_b32 v60, v70, v12, vcc_lo :: v_dual_cndmask_b32 v12, v12, v66, vcc_lo
	s_delay_alu instid0(VALU_DEP_1) | instskip(NEXT) | instid1(VALU_DEP_1)
	v_dual_cndmask_b32 v11, v11, v13, s11 :: v_dual_cndmask_b32 v6, v6, v60, s10
	v_cndmask_b32_e64 v13, v13, v6, s11
	s_delay_alu instid0(VALU_DEP_1) | instskip(NEXT) | instid1(VALU_DEP_1)
	v_alignbit_b32 v67, v11, v13, v5
	v_dual_cndmask_b32 v116, v67, v11, s12 :: v_dual_cndmask_b32 v11, v60, v10, s10
	s_delay_alu instid0(VALU_DEP_1) | instskip(SKIP_1) | instid1(VALU_DEP_2)
	v_dual_lshrrev_b32 v112, 30, v116 :: v_dual_cndmask_b32 v6, v6, v11, s11
	v_cndmask_b32_e64 v10, v10, v12, s10
	v_alignbit_b32 v60, v13, v6, v5
	s_delay_alu instid0(VALU_DEP_1) | instskip(SKIP_1) | instid1(VALU_DEP_2)
	v_dual_cndmask_b32 v113, v60, v13, s12 :: v_dual_cndmask_b32 v10, v11, v10, s11
	v_dual_mov_b32 v11, v75 :: v_dual_mov_b32 v13, v75
	v_alignbit_b32 v5, v6, v10, v5
	s_delay_alu instid0(VALU_DEP_1) | instskip(SKIP_1) | instid1(VALU_DEP_2)
	v_cndmask_b32_e64 v114, v5, v6, s12
	v_mul_f32_e64 v5, 0x3f22f983, |v110|
	v_alignbit_b32 v115, v114, v10, 30
	s_delay_alu instid0(VALU_DEP_2) | instskip(SKIP_1) | instid1(VALU_DEP_2)
	v_rndne_f32_e32 v67, v5
	v_dual_mov_b32 v10, v69 :: v_dual_lshrrev_b32 v5, 23, v42
	v_cvt_i32_f32_e32 v111, v67
	s_delay_alu instid0(VALU_DEP_2) | instskip(NEXT) | instid1(VALU_DEP_1)
	v_mad_nc_u64_u32 v[10:11], 0x3c439041, v74, v[10:11]
	v_dual_mov_b32 v12, v11 :: v_dual_add_nc_u32 v5, 0xffffff88, v5
	s_delay_alu instid0(VALU_DEP_1) | instskip(NEXT) | instid1(VALU_DEP_2)
	v_cmp_lt_u32_e64 s12, 63, v5
	v_mad_nc_u64_u32 v[70:71], 0xdb629599, v74, v[12:13]
	s_delay_alu instid0(VALU_DEP_2) | instskip(NEXT) | instid1(VALU_DEP_1)
	v_cndmask_b32_e64 v6, 0, 0xffffffc0, s12
	v_add_nc_u32_e32 v5, v6, v5
	s_delay_alu instid0(VALU_DEP_1) | instskip(NEXT) | instid1(VALU_DEP_4)
	v_cmp_lt_u32_e64 s11, 31, v5
	v_mov_b32_e32 v12, v71
	s_delay_alu instid0(VALU_DEP_2) | instskip(NEXT) | instid1(VALU_DEP_2)
	v_cndmask_b32_e64 v6, 0, 0xffffffe0, s11
	v_mad_nc_u64_u32 v[12:13], 0xf534ddc0, v74, v[12:13]
	s_delay_alu instid0(VALU_DEP_2) | instskip(NEXT) | instid1(VALU_DEP_1)
	v_add_nc_u32_e32 v5, v6, v5
	v_cmp_lt_u32_e32 vcc_lo, 31, v5
	s_delay_alu instid0(VALU_DEP_3) | instskip(SKIP_1) | instid1(VALU_DEP_2)
	v_dual_mov_b32 v76, v13 :: v_dual_cndmask_b32 v71, v12, v10, s12
	v_cndmask_b32_e64 v6, 0, 0xffffffe0, vcc_lo
	v_mad_nc_u64_u32 v[76:77], 0xfc2757d1, v74, v[76:77]
	s_delay_alu instid0(VALU_DEP_2) | instskip(NEXT) | instid1(VALU_DEP_1)
	v_dual_mov_b32 v105, v75 :: v_dual_add_nc_u32 v60, v6, v5
	v_cmp_eq_u32_e64 s10, 0, v60
	s_delay_alu instid0(VALU_DEP_3) | instskip(NEXT) | instid1(VALU_DEP_1)
	v_dual_mov_b32 v78, v77 :: v_dual_cndmask_b32 v66, v76, v70, s12
	v_mad_nc_u64_u32 v[78:79], 0x4e441529, v74, v[78:79]
	s_delay_alu instid0(VALU_DEP_1) | instskip(NEXT) | instid1(VALU_DEP_1)
	v_dual_cndmask_b32 v5, v78, v12, s12 :: v_dual_mov_b32 v104, v79
	v_mad_nc_u64_u32 v[104:105], 0xa2f9836e, v74, v[104:105]
	v_alignbit_b32 v74, v113, v114, 30
	s_delay_alu instid0(VALU_DEP_2) | instskip(NEXT) | instid1(VALU_DEP_1)
	v_dual_cndmask_b32 v6, v104, v76, s12 :: v_dual_cndmask_b32 v104, v65, v118, s9
	v_dual_cndmask_b32 v13, v105, v78, s12 :: v_dual_cndmask_b32 v11, v6, v5, s11
	;; [unrolled: 1-line block ×3, first 2 shown]
	s_delay_alu instid0(VALU_DEP_2) | instskip(NEXT) | instid1(VALU_DEP_1)
	v_cndmask_b32_e64 v6, v13, v6, s11
	v_dual_cndmask_b32 v13, v6, v11 :: v_dual_sub_nc_u32 v6, 32, v60
	s_delay_alu instid0(VALU_DEP_3) | instskip(NEXT) | instid1(VALU_DEP_1)
	v_cndmask_b32_e32 v11, v11, v5, vcc_lo
	v_alignbit_b32 v60, v13, v11, v6
	s_delay_alu instid0(VALU_DEP_1) | instskip(NEXT) | instid1(VALU_DEP_1)
	v_dual_cndmask_b32 v121, v60, v13, s10 :: v_dual_cndmask_b32 v60, v5, v66, vcc_lo
	v_lshrrev_b32_e32 v120, 30, v121
	s_delay_alu instid0(VALU_DEP_2) | instskip(NEXT) | instid1(VALU_DEP_1)
	v_alignbit_b32 v5, v11, v60, v6
	v_dual_cndmask_b32 v69, v5, v11, s10 :: v_dual_cndmask_b32 v5, v70, v68, s12
	s_delay_alu instid0(VALU_DEP_1) | instskip(NEXT) | instid1(VALU_DEP_1)
	v_cndmask_b32_e64 v5, v71, v5, s11
	v_cndmask_b32_e32 v5, v66, v5, vcc_lo
	v_cmp_class_f32_e64 vcc_lo, v109, 0x1f8
	s_delay_alu instid0(VALU_DEP_2) | instskip(NEXT) | instid1(VALU_DEP_1)
	v_alignbit_b32 v6, v60, v5, v6
	v_cndmask_b32_e64 v122, v6, v60, s10
	v_cndmask_b32_e64 v60, v18, v41, s8
	v_bfe_u32 v18, v121, 29, 1
	v_lshrrev_b32_e32 v41, 29, v121
	v_cmp_class_f32_e64 s10, v110, 0x1f8
	v_alignbit_b32 v68, v122, v5, 30
	v_mul_f32_e64 v5, 0x3f22f983, |v109|
	v_dual_sub_nc_u32 v12, 0, v18 :: v_dual_add_nc_u32 v18, v18, v120
	s_delay_alu instid0(VALU_DEP_2) | instskip(SKIP_2) | instid1(VALU_DEP_3)
	v_rndne_f32_e32 v66, v5
	v_dual_cndmask_b32 v5, v29, v63, s8 :: v_dual_mul_f32 v10, v60, v60
	v_dual_lshrrev_b32 v63, 29, v116 :: v_dual_lshlrev_b32 v41, 31, v41
	v_cvt_i32_f32_e32 v6, v66
	s_delay_alu instid0(VALU_DEP_3) | instskip(NEXT) | instid1(VALU_DEP_4)
	v_and_b32_e32 v71, 1, v5
	v_fmaak_f32 v11, s36, v10, 0x3c0881c4
	v_lshlrev_b32_e32 v5, 30, v5
	s_delay_alu instid0(VALU_DEP_3) | instskip(NEXT) | instid1(VALU_DEP_3)
	v_cmp_eq_u32_e64 s8, 0, v71
	v_fmaak_f32 v11, v10, v11, 0xbe2aaa9d
	s_delay_alu instid0(VALU_DEP_3) | instskip(NEXT) | instid1(VALU_DEP_2)
	v_and_b32_e32 v103, 0x80000000, v5
	v_mul_f32_e32 v11, v10, v11
	s_delay_alu instid0(VALU_DEP_1) | instskip(NEXT) | instid1(VALU_DEP_1)
	v_dual_fmac_f32 v60, v60, v11 :: v_dual_fmaak_f32 v11, s38, v10, 0xbab64f3b
	v_fmaak_f32 v11, v10, v11, 0x3d2aabf7
	s_delay_alu instid0(VALU_DEP_1) | instskip(NEXT) | instid1(VALU_DEP_1)
	v_fmaak_f32 v11, v10, v11, 0xbf000004
	v_fma_f32 v70, v10, v11, 1.0
	s_delay_alu instid0(VALU_DEP_1) | instskip(NEXT) | instid1(VALU_DEP_1)
	v_cndmask_b32_e64 v10, -v60, v70, s8
	v_bitop3_b32 v5, v5, v10, 0x80000000 bitop3:0x6c
	v_mul_f32_e32 v10, v104, v104
	s_delay_alu instid0(VALU_DEP_2) | instskip(NEXT) | instid1(VALU_DEP_2)
	v_cndmask_b32_e64 v29, 0x7fc00000, v5, s3
	v_fmaak_f32 v11, s36, v10, 0x3c0881c4
	s_delay_alu instid0(VALU_DEP_1) | instskip(NEXT) | instid1(VALU_DEP_1)
	v_fmaak_f32 v11, v10, v11, 0xbe2aaa9d
	v_mul_f32_e32 v11, v10, v11
	s_delay_alu instid0(VALU_DEP_1) | instskip(NEXT) | instid1(VALU_DEP_1)
	v_dual_fmac_f32 v104, v104, v11 :: v_dual_fmaak_f32 v11, s38, v10, 0xbab64f3b
	v_fmaak_f32 v11, v10, v11, 0x3d2aabf7
	s_delay_alu instid0(VALU_DEP_1) | instskip(NEXT) | instid1(VALU_DEP_1)
	v_fmaak_f32 v11, v10, v11, 0xbf000004
	v_fma_f32 v105, v10, v11, 1.0
	v_cndmask_b32_e64 v5, v117, v119, s9
	scratch_load_b64 v[118:119], off, off offset:8 ; 8-byte Folded Reload
	v_bfe_u32 v117, v116, 29, 1
	v_cmp_gt_f32_e64 s9, 0x48000000, |v110|
	s_delay_alu instid0(VALU_DEP_2) | instskip(NEXT) | instid1(VALU_DEP_1)
	v_dual_add_nc_u32 v112, v117, v112 :: v_dual_bitop2_b32 v106, 1, v5 bitop3:0x40
	v_cmp_eq_u32_e64 s8, 0, v106
	s_delay_alu instid0(VALU_DEP_1) | instskip(SKIP_2) | instid1(VALU_DEP_2)
	v_cndmask_b32_e64 v10, -v104, v105, s8
	v_lshlrev_b32_e32 v5, 30, v5
	v_cmp_gt_f32_e64 s8, 0x48000000, |v109|
	v_and_b32_e32 v107, 0x80000000, v5
	s_delay_alu instid0(VALU_DEP_4)
	v_bitop3_b32 v5, v5, v10, 0x80000000 bitop3:0x6c
	v_alignbit_b32 v10, v121, v69, 30
	v_sub_nc_u32_e32 v11, 0, v117
	v_alignbit_b32 v69, v69, v122, 30
	v_cndmask_b32_e64 v6, v18, v6, s8
	v_cndmask_b32_e64 v108, 0x7fc00000, v5, s4
	v_alignbit_b32 v5, v116, v113, 30
	v_xor_b32_e32 v10, v10, v12
	v_xor_b32_e32 v69, v69, v12
	s_delay_alu instid0(VALU_DEP_3) | instskip(NEXT) | instid1(VALU_DEP_1)
	v_xor_b32_e32 v5, v5, v11
	v_clz_i32_u32_e32 v13, v5
	s_delay_alu instid0(VALU_DEP_1) | instskip(SKIP_3) | instid1(VALU_DEP_4)
	v_min_u32_e32 v65, 32, v13
	v_xor_b32_e32 v13, v115, v11
	v_xor_b32_e32 v11, v74, v11
	v_clz_i32_u32_e32 v74, v10
	v_sub_nc_u32_e32 v76, 31, v65
	s_delay_alu instid0(VALU_DEP_2) | instskip(NEXT) | instid1(VALU_DEP_2)
	v_min_u32_e32 v113, 32, v74
	v_alignbit_b32 v5, v5, v11, v76
	v_xor_b32_e32 v12, v68, v12
	v_alignbit_b32 v11, v11, v13, v76
	s_delay_alu instid0(VALU_DEP_4) | instskip(NEXT) | instid1(VALU_DEP_2)
	v_sub_nc_u32_e32 v74, 31, v113
	v_alignbit_b32 v68, v5, v11, 9
	s_delay_alu instid0(VALU_DEP_2) | instskip(SKIP_2) | instid1(VALU_DEP_4)
	v_alignbit_b32 v10, v10, v69, v74
	v_lshrrev_b32_e32 v5, 9, v5
	v_alignbit_b32 v12, v69, v12, v74
	v_clz_i32_u32_e32 v69, v68
	s_delay_alu instid0(VALU_DEP_2) | instskip(SKIP_1) | instid1(VALU_DEP_3)
	v_alignbit_b32 v13, v10, v12, 9
	v_lshrrev_b32_e32 v10, 9, v10
	v_min_u32_e32 v69, 32, v69
	s_delay_alu instid0(VALU_DEP_3) | instskip(NEXT) | instid1(VALU_DEP_2)
	v_clz_i32_u32_e32 v74, v13
	v_xor_b32_e32 v76, -1, v69
	v_add_lshl_u32 v69, v69, v65, 23
	s_delay_alu instid0(VALU_DEP_3) | instskip(NEXT) | instid1(VALU_DEP_3)
	v_min_u32_e32 v74, 32, v74
	v_alignbit_b32 v11, v68, v11, v76
	v_or_b32_e32 v68, 0x33000000, v41
	s_delay_alu instid0(VALU_DEP_3) | instskip(SKIP_1) | instid1(VALU_DEP_4)
	v_xor_b32_e32 v77, -1, v74
	v_add_lshl_u32 v74, v113, v74, 23
	v_lshrrev_b32_e32 v11, 9, v11
	s_delay_alu instid0(VALU_DEP_3) | instskip(NEXT) | instid1(VALU_DEP_3)
	v_alignbit_b32 v12, v13, v12, v77
	v_dual_lshlrev_b32 v13, 31, v63 :: v_dual_sub_nc_u32 v68, v68, v74
	s_delay_alu instid0(VALU_DEP_2) | instskip(NEXT) | instid1(VALU_DEP_2)
	v_lshrrev_b32_e32 v12, 9, v12
	v_or_b32_e32 v63, 0x33000000, v13
	s_delay_alu instid0(VALU_DEP_1) | instskip(NEXT) | instid1(VALU_DEP_1)
	v_sub_nc_u32_e32 v63, v63, v69
	v_or_b32_e32 v69, v63, v11
	v_or_b32_e32 v11, 0.5, v13
	v_or_b32_e32 v68, v68, v12
	v_or_b32_e32 v12, 0.5, v41
	v_lshlrev_b32_e32 v13, 23, v113
	v_lshlrev_b32_e32 v41, 23, v65
	s_delay_alu instid0(VALU_DEP_2) | instskip(NEXT) | instid1(VALU_DEP_2)
	v_sub_nc_u32_e32 v12, v12, v13
	v_dual_sub_nc_u32 v11, v11, v41 :: v_dual_cndmask_b32 v41, v112, v111, s9
	s_delay_alu instid0(VALU_DEP_2) | instskip(NEXT) | instid1(VALU_DEP_2)
	v_or_b32_e32 v10, v10, v12
	v_or_b32_e32 v11, v5, v11
	s_delay_alu instid0(VALU_DEP_3) | instskip(NEXT) | instid1(VALU_DEP_2)
	v_and_b32_e32 v5, 1, v41
	v_pk_mul_f32 v[12:13], v[10:11], s[48:49] op_sel_hi:[1,0]
	s_delay_alu instid0(VALU_DEP_1) | instskip(NEXT) | instid1(VALU_DEP_1)
	v_pk_fma_f32 v[76:77], v[10:11], s[48:49], v[12:13] op_sel_hi:[1,0,1] neg_lo:[0,0,1] neg_hi:[0,0,1]
	v_pk_fma_f32 v[10:11], v[10:11], s[50:51], v[76:77] op_sel_hi:[1,0,1]
	s_delay_alu instid0(VALU_DEP_1) | instskip(NEXT) | instid1(VALU_DEP_1)
	v_pk_fma_f32 v[10:11], v[68:69], s[48:49], v[10:11] op_sel_hi:[1,0,1]
	v_pk_add_f32 v[10:11], v[12:13], v[10:11]
	v_pk_fma_f32 v[12:13], v[66:67], s[46:47], v[42:43] op_sel_hi:[1,0,1]
	s_delay_alu instid0(VALU_DEP_1) | instskip(NEXT) | instid1(VALU_DEP_1)
	v_pk_fma_f32 v[12:13], v[66:67], s[44:45], v[12:13] op_sel_hi:[1,0,1]
	v_pk_fma_f32 v[12:13], v[66:67], s[42:43], v[12:13] op_sel_hi:[1,0,1]
	s_delay_alu instid0(VALU_DEP_1) | instskip(SKIP_3) | instid1(VALU_DEP_4)
	v_dual_cndmask_b32 v67, v11, v13, s9 :: v_dual_cndmask_b32 v66, v10, v12, s8
	v_cmp_eq_u32_e64 s9, 0, v5
	v_dual_lshlrev_b32 v5, 30, v41 :: v_dual_mov_b32 v41, v1
	v_add_f32_e32 v1, v62, v64
	v_pk_mul_f32 v[10:11], v[66:67], v[66:67]
                                        ; implicit-def: $vgpr62
	s_delay_alu instid0(VALU_DEP_3) | instskip(NEXT) | instid1(VALU_DEP_2)
	v_and_b32_e32 v5, 0x80000000, v5
	v_pk_fma_f32 v[12:13], v[10:11], s[36:37], s[56:57] op_sel_hi:[1,0,0]
	s_delay_alu instid0(VALU_DEP_2) | instskip(NEXT) | instid1(VALU_DEP_2)
	v_xor_b32_e32 v5, v5, v110
	v_pk_fma_f32 v[12:13], v[10:11], v[12:13], s[58:59] op_sel_hi:[1,1,0]
	s_delay_alu instid0(VALU_DEP_1) | instskip(NEXT) | instid1(VALU_DEP_1)
	v_pk_mul_f32 v[12:13], v[10:11], v[12:13]
	v_pk_fma_f32 v[12:13], v[66:67], v[12:13], v[66:67]
	v_pk_fma_f32 v[66:67], v[10:11], s[38:39], s[54:55] op_sel_hi:[1,0,0]
	s_delay_alu instid0(VALU_DEP_1) | instskip(NEXT) | instid1(VALU_DEP_1)
	v_pk_fma_f32 v[66:67], v[10:11], v[66:67], s[52:53] op_sel_hi:[1,1,0]
	v_pk_fma_f32 v[66:67], v[10:11], v[66:67], s[24:25] op_sel_hi:[1,1,0]
	s_mov_b32 s24, s25
	s_delay_alu instid0(VALU_DEP_1) | instskip(SKIP_1) | instid1(VALU_DEP_2)
	v_pk_fma_f32 v[10:11], v[10:11], v[66:67], 1.0 op_sel_hi:[1,1,0]
	v_dual_lshlrev_b32 v6, 30, v6 :: v_dual_bitop2_b32 v18, 1, v6 bitop3:0x40
	v_cndmask_b32_e64 v11, v11, v13, s9
	s_delay_alu instid0(VALU_DEP_2) | instskip(NEXT) | instid1(VALU_DEP_3)
	v_cmp_eq_u32_e64 s8, 0, v18
	v_and_b32_e32 v6, 0x80000000, v6
	s_delay_alu instid0(VALU_DEP_2) | instskip(NEXT) | instid1(VALU_DEP_2)
	v_dual_cndmask_b32 v10, v10, v12, s8 :: v_dual_bitop2_b32 v5, v5, v11 bitop3:0x14
	v_xor_b32_e32 v6, v6, v109
	s_delay_alu instid0(VALU_DEP_2) | instskip(NEXT) | instid1(VALU_DEP_2)
	v_xor_b32_e32 v5, v5, v43
	v_xor_b32_e32 v6, v6, v10
	s_delay_alu instid0(VALU_DEP_2) | instskip(NEXT) | instid1(VALU_DEP_2)
	v_cndmask_b32_e64 v43, 0x7fc00000, v5, s10
	v_xor_b32_e32 v6, v6, v42
	s_delay_alu instid0(VALU_DEP_1) | instskip(NEXT) | instid1(VALU_DEP_1)
	v_cndmask_b32_e32 v42, 0x7fc00000, v6, vcc_lo
	v_pk_fma_f32 v[40:41], v[40:41], v[42:43], v[14:15]
	v_dual_mov_b32 v42, v45 :: v_dual_mov_b32 v43, v44
	v_mov_b64_e32 v[44:45], 0
	s_branch .LBB0_28
.LBB0_21:                               ;   in Loop: Header=BB0_28 Depth=1
	s_or_b32 exec_lo, exec_lo, s16
	s_wait_loadcnt 0x0
	s_delay_alu instid0(VALU_DEP_1)
	v_dual_mov_b32 v64, v63 :: v_dual_mov_b32 v65, v62
.LBB0_22:                               ;   in Loop: Header=BB0_28 Depth=1
	s_or_b32 exec_lo, exec_lo, s15
.LBB0_23:                               ;   in Loop: Header=BB0_28 Depth=1
	s_delay_alu instid0(SALU_CYCLE_1)
	s_or_b32 exec_lo, exec_lo, s12
.LBB0_24:                               ;   in Loop: Header=BB0_28 Depth=1
	s_delay_alu instid0(SALU_CYCLE_1)
	s_or_b32 exec_lo, exec_lo, s9
.LBB0_25:                               ;   in Loop: Header=BB0_28 Depth=1
	s_delay_alu instid0(SALU_CYCLE_1)
	s_or_b32 exec_lo, exec_lo, s8
	s_wait_loadcnt 0x0
	v_dual_mov_b32 v62, v65 :: v_dual_mov_b32 v63, v64
.LBB0_26:                               ;   in Loop: Header=BB0_28 Depth=1
	s_or_b32 exec_lo, exec_lo, s11
	s_wait_loadcnt 0x0
	s_delay_alu instid0(VALU_DEP_1)
	v_pk_fma_f32 v[44:45], v[18:19], v[62:63], v[44:45] op_sel_hi:[0,1,1]
.LBB0_27:                               ;   in Loop: Header=BB0_28 Depth=1
	s_or_b32 exec_lo, exec_lo, s10
	s_add_co_i32 s24, s24, 1
	s_delay_alu instid0(SALU_CYCLE_1)
	s_cmp_lg_u32 s24, 5
	s_cbranch_scc0 .LBB0_246
.LBB0_28:                               ; =>This Loop Header: Depth=1
                                        ;     Child Loop BB0_148 Depth 2
                                        ;     Child Loop BB0_161 Depth 2
	v_lshl_add_u64 v[64:65], s[24:25], 3, v[8:9]
	s_mov_b32 s10, exec_lo
	global_load_b32 v18, v[64:65], off offset:4
	s_wait_loadcnt 0x0
	v_cmpx_ngt_f32_e64 0x3c23d70a, |v18|
	s_cbranch_execz .LBB0_27
; %bb.29:                               ;   in Loop: Header=BB0_28 Depth=1
	global_load_b32 v6, v[64:65], off
	s_mov_b32 s8, exec_lo
	s_wait_loadcnt 0x0
	v_cmpx_lt_i32_e32 17, v6
	s_xor_b32 s11, exec_lo, s8
	s_cbranch_execz .LBB0_175
; %bb.30:                               ;   in Loop: Header=BB0_28 Depth=1
	s_mov_b32 s8, exec_lo
	v_cmpx_lt_i32_e32 33, v6
	s_xor_b32 s12, exec_lo, s8
	s_cbranch_execz .LBB0_116
; %bb.31:                               ;   in Loop: Header=BB0_28 Depth=1
	s_mov_b32 s8, exec_lo
	;; [unrolled: 5-line block ×6, first 2 shown]
	v_cmpx_eq_u32_e32 48, v6
	s_cbranch_execz .LBB0_37
; %bb.36:                               ;   in Loop: Header=BB0_28 Depth=1
	scratch_load_b64 v[62:63], off, off offset:28 ; 8-byte Folded Reload
.LBB0_37:                               ;   in Loop: Header=BB0_28 Depth=1
	s_wait_xcnt 0x0
	s_or_b32 exec_lo, exec_lo, s9
.LBB0_38:                               ;   in Loop: Header=BB0_28 Depth=1
	s_and_not1_saveexec_b32 s18, s8
	s_cbranch_execz .LBB0_48
; %bb.39:                               ;   in Loop: Header=BB0_28 Depth=1
	global_load_b32 v5, v[118:119], off
                                        ; implicit-def: $vgpr65
                                        ; implicit-def: $vgpr64
	s_wait_loadcnt 0x0
	v_mul_f32_e32 v5, v16, v5
	s_delay_alu instid0(VALU_DEP_1) | instskip(NEXT) | instid1(VALU_DEP_1)
	v_mul_f32_e32 v62, v18, v5
	v_and_b32_e32 v63, 0x7fffffff, v62
	s_delay_alu instid0(VALU_DEP_1) | instskip(SKIP_2) | instid1(VALU_DEP_3)
	v_lshrrev_b32_e32 v5, 23, v63
	v_cmp_ngt_f32_e64 s19, 0x48000000, |v62|
	v_and_or_b32 v74, v63, s33, 0x800000
	v_add_nc_u32_e32 v66, 0xffffff88, v5
	s_wait_xcnt 0x0
	s_and_saveexec_b32 s8, s19
	s_delay_alu instid0(SALU_CYCLE_1)
	s_xor_b32 s20, exec_lo, s8
	s_cbranch_execz .LBB0_41
; %bb.40:                               ;   in Loop: Header=BB0_28 Depth=1
	v_mul_u64_e32 v[10:11], s[34:35], v[74:75]
	v_mov_b32_e32 v13, v75
	v_cmp_lt_u32_e32 vcc_lo, 63, v66
	v_mov_b32_e32 v111, v75
	v_cndmask_b32_e64 v5, 0, 0xffffffc0, vcc_lo
	s_delay_alu instid0(VALU_DEP_1) | instskip(NEXT) | instid1(VALU_DEP_1)
	v_add_nc_u32_e32 v5, v5, v66
	v_cmp_lt_u32_e64 s8, 31, v5
	s_delay_alu instid0(VALU_DEP_1) | instskip(NEXT) | instid1(VALU_DEP_1)
	v_cndmask_b32_e64 v6, 0, 0xffffffe0, s8
	v_dual_mov_b32 v12, v11 :: v_dual_add_nc_u32 v5, v6, v5
	s_delay_alu instid0(VALU_DEP_1) | instskip(NEXT) | instid1(VALU_DEP_2)
	v_cmp_lt_u32_e64 s9, 31, v5
	v_mad_nc_u64_u32 v[12:13], 0x3c439041, v74, v[12:13]
	v_mov_b32_e32 v65, v75
	s_delay_alu instid0(VALU_DEP_3) | instskip(NEXT) | instid1(VALU_DEP_1)
	v_cndmask_b32_e64 v6, 0, 0xffffffe0, s9
	v_dual_mov_b32 v64, v13 :: v_dual_add_nc_u32 v5, v6, v5
	s_delay_alu instid0(VALU_DEP_1) | instskip(NEXT) | instid1(VALU_DEP_1)
	v_mad_nc_u64_u32 v[64:65], 0xdb629599, v74, v[64:65]
	v_dual_mov_b32 v69, v75 :: v_dual_mov_b32 v68, v65
	s_delay_alu instid0(VALU_DEP_2) | instskip(NEXT) | instid1(VALU_DEP_2)
	v_cndmask_b32_e32 v10, v64, v10, vcc_lo
	v_mad_nc_u64_u32 v[68:69], 0xf534ddc0, v74, v[68:69]
	s_delay_alu instid0(VALU_DEP_1) | instskip(NEXT) | instid1(VALU_DEP_1)
	v_dual_mov_b32 v77, v75 :: v_dual_mov_b32 v76, v69
	v_mad_nc_u64_u32 v[76:77], 0xfc2757d1, v74, v[76:77]
	s_delay_alu instid0(VALU_DEP_1) | instskip(NEXT) | instid1(VALU_DEP_2)
	v_dual_mov_b32 v79, v75 :: v_dual_mov_b32 v78, v77
	v_cndmask_b32_e32 v67, v76, v64, vcc_lo
	s_delay_alu instid0(VALU_DEP_2) | instskip(NEXT) | instid1(VALU_DEP_1)
	v_mad_nc_u64_u32 v[78:79], 0x4e441529, v74, v[78:79]
	v_mov_b32_e32 v110, v79
	s_delay_alu instid0(VALU_DEP_1) | instskip(NEXT) | instid1(VALU_DEP_1)
	v_mad_nc_u64_u32 v[110:111], 0xa2f9836e, v74, v[110:111]
	v_dual_cndmask_b32 v11, v78, v68, vcc_lo :: v_dual_cndmask_b32 v65, v111, v78, vcc_lo
	s_delay_alu instid0(VALU_DEP_2) | instskip(SKIP_2) | instid1(VALU_DEP_3)
	v_cndmask_b32_e32 v13, v110, v76, vcc_lo
	v_cndmask_b32_e32 v6, v68, v12, vcc_lo
	v_cmp_eq_u32_e32 vcc_lo, 0, v5
	v_cndmask_b32_e64 v12, v13, v11, s8
	v_dual_cndmask_b32 v11, v11, v67, s8 :: v_dual_cndmask_b32 v13, v65, v13, s8
	s_delay_alu instid0(VALU_DEP_4) | instskip(NEXT) | instid1(VALU_DEP_2)
	v_dual_cndmask_b32 v67, v67, v6, s8 :: v_dual_sub_nc_u32 v65, 32, v5
	v_dual_cndmask_b32 v6, v6, v10, s8 :: v_dual_cndmask_b32 v13, v13, v12, s9
	s_delay_alu instid0(VALU_DEP_1) | instskip(NEXT) | instid1(VALU_DEP_1)
	v_dual_cndmask_b32 v12, v12, v11, s9 :: v_dual_cndmask_b32 v6, v67, v6, s9
	v_alignbit_b32 v68, v13, v12, v65
	s_delay_alu instid0(VALU_DEP_1) | instskip(NEXT) | instid1(VALU_DEP_1)
	v_dual_cndmask_b32 v11, v11, v67, s9 :: v_dual_cndmask_b32 v5, v68, v13, vcc_lo
	v_alignbit_b32 v64, v12, v11, v65
	s_delay_alu instid0(VALU_DEP_4) | instskip(NEXT) | instid1(VALU_DEP_2)
	v_alignbit_b32 v65, v11, v6, v65
	v_cndmask_b32_e32 v10, v64, v12, vcc_lo
	s_delay_alu instid0(VALU_DEP_4) | instskip(NEXT) | instid1(VALU_DEP_2)
	v_bfe_u32 v12, v5, 29, 1
	v_alignbit_b32 v13, v5, v10, 30
	s_delay_alu instid0(VALU_DEP_2) | instskip(NEXT) | instid1(VALU_DEP_1)
	v_dual_cndmask_b32 v11, v65, v11 :: v_dual_sub_nc_u32 v64, 0, v12
	v_xor_b32_e32 v13, v13, v64
	s_delay_alu instid0(VALU_DEP_2) | instskip(NEXT) | instid1(VALU_DEP_2)
	v_alignbit_b32 v10, v10, v11, 30
	v_clz_i32_u32_e32 v65, v13
	s_delay_alu instid0(VALU_DEP_2) | instskip(SKIP_1) | instid1(VALU_DEP_3)
	v_xor_b32_e32 v10, v10, v64
	v_alignbit_b32 v6, v11, v6, 30
	v_min_u32_e32 v65, 32, v65
	s_delay_alu instid0(VALU_DEP_2) | instskip(SKIP_1) | instid1(VALU_DEP_3)
	v_dual_lshrrev_b32 v64, 29, v5 :: v_dual_bitop2_b32 v6, v6, v64 bitop3:0x14
	v_lshrrev_b32_e32 v5, 30, v5
	v_dual_sub_nc_u32 v11, 31, v65 :: v_dual_lshlrev_b32 v67, 23, v65
	s_delay_alu instid0(VALU_DEP_1) | instskip(NEXT) | instid1(VALU_DEP_4)
	v_alignbit_b32 v13, v13, v10, v11
	v_alignbit_b32 v6, v10, v6, v11
	v_lshlrev_b32_e32 v10, 31, v64
	s_delay_alu instid0(VALU_DEP_2) | instskip(NEXT) | instid1(VALU_DEP_2)
	v_alignbit_b32 v11, v13, v6, 9
	v_dual_lshrrev_b32 v13, 9, v13 :: v_dual_bitop2_b32 v64, 0.5, v10 bitop3:0x54
	v_or_b32_e32 v10, 0x33000000, v10
	s_delay_alu instid0(VALU_DEP_3) | instskip(NEXT) | instid1(VALU_DEP_3)
	v_clz_i32_u32_e32 v68, v11
	v_sub_nc_u32_e32 v64, v64, v67
	s_delay_alu instid0(VALU_DEP_2) | instskip(NEXT) | instid1(VALU_DEP_1)
	v_min_u32_e32 v67, 32, v68
	v_add_lshl_u32 v65, v67, v65, 23
	s_delay_alu instid0(VALU_DEP_1) | instskip(SKIP_2) | instid1(VALU_DEP_2)
	v_dual_sub_nc_u32 v10, v10, v65 :: v_dual_bitop2_b32 v13, v13, v64 bitop3:0x54
	v_not_b32_e32 v64, v67
	v_add_nc_u32_e32 v65, v12, v5
	v_alignbit_b32 v6, v11, v6, v64
	s_delay_alu instid0(VALU_DEP_1) | instskip(NEXT) | instid1(VALU_DEP_1)
	v_lshrrev_b32_e32 v6, 9, v6
	v_or_b32_e32 v6, v10, v6
	v_mul_f32_e32 v68, 0x3fc90fda, v13
	s_delay_alu instid0(VALU_DEP_1) | instskip(NEXT) | instid1(VALU_DEP_1)
	v_fma_f32 v11, 0x3fc90fda, v13, -v68
	v_fmac_f32_e32 v11, 0x33a22168, v13
	s_delay_alu instid0(VALU_DEP_1) | instskip(NEXT) | instid1(VALU_DEP_1)
	v_fmac_f32_e32 v11, 0x3fc90fda, v6
	v_add_f32_e32 v64, v68, v11
.LBB0_41:                               ;   in Loop: Header=BB0_28 Depth=1
	s_or_saveexec_b32 s8, s20
	v_mul_f32_e64 v5, 0x3f22f983, |v62|
	s_delay_alu instid0(VALU_DEP_1)
	v_rndne_f32_e32 v69, v5
	s_xor_b32 exec_lo, exec_lo, s8
; %bb.42:                               ;   in Loop: Header=BB0_28 Depth=1
	s_delay_alu instid0(VALU_DEP_1) | instskip(SKIP_1) | instid1(VALU_DEP_2)
	v_fma_f32 v64, 0xbfc90fda, v69, |v62|
	v_cvt_i32_f32_e32 v65, v69
	v_fmac_f32_e32 v64, 0xb3a22168, v69
	s_delay_alu instid0(VALU_DEP_1)
	v_fmac_f32_e32 v64, 0xa7c234c4, v69
; %bb.43:                               ;   in Loop: Header=BB0_28 Depth=1
	s_or_b32 exec_lo, exec_lo, s8
                                        ; implicit-def: $vgpr68
                                        ; implicit-def: $vgpr67
	s_and_saveexec_b32 s8, s19
	s_delay_alu instid0(SALU_CYCLE_1)
	s_xor_b32 s19, exec_lo, s8
	s_cbranch_execz .LBB0_45
; %bb.44:                               ;   in Loop: Header=BB0_28 Depth=1
	v_mul_u64_e32 v[10:11], s[34:35], v[74:75]
	v_mov_b32_e32 v13, v75
	v_cmp_lt_u32_e32 vcc_lo, 63, v66
	v_mov_b32_e32 v67, v75
	v_cndmask_b32_e64 v5, 0, 0xffffffc0, vcc_lo
	s_delay_alu instid0(VALU_DEP_1) | instskip(NEXT) | instid1(VALU_DEP_1)
	v_add_nc_u32_e32 v5, v5, v66
	v_cmp_lt_u32_e64 s8, 31, v5
	s_delay_alu instid0(VALU_DEP_1) | instskip(NEXT) | instid1(VALU_DEP_1)
	v_cndmask_b32_e64 v6, 0, 0xffffffe0, s8
	v_dual_mov_b32 v12, v11 :: v_dual_add_nc_u32 v5, v6, v5
	s_delay_alu instid0(VALU_DEP_1) | instskip(NEXT) | instid1(VALU_DEP_2)
	v_cmp_lt_u32_e64 s9, 31, v5
	v_mad_nc_u64_u32 v[12:13], 0x3c439041, v74, v[12:13]
	v_mov_b32_e32 v69, v75
	s_delay_alu instid0(VALU_DEP_3) | instskip(NEXT) | instid1(VALU_DEP_3)
	v_cndmask_b32_e64 v6, 0, 0xffffffe0, s9
	v_mov_b32_e32 v68, v13
	s_delay_alu instid0(VALU_DEP_1) | instskip(NEXT) | instid1(VALU_DEP_1)
	v_mad_nc_u64_u32 v[68:69], 0xdb629599, v74, v[68:69]
	v_dual_mov_b32 v77, v75 :: v_dual_mov_b32 v76, v69
	s_delay_alu instid0(VALU_DEP_2) | instskip(NEXT) | instid1(VALU_DEP_2)
	v_cndmask_b32_e32 v10, v68, v10, vcc_lo
	v_mad_nc_u64_u32 v[76:77], 0xf534ddc0, v74, v[76:77]
	s_delay_alu instid0(VALU_DEP_1) | instskip(NEXT) | instid1(VALU_DEP_1)
	v_dual_mov_b32 v79, v75 :: v_dual_mov_b32 v78, v77
	v_mad_nc_u64_u32 v[78:79], 0xfc2757d1, v74, v[78:79]
	s_delay_alu instid0(VALU_DEP_1) | instskip(NEXT) | instid1(VALU_DEP_1)
	v_dual_mov_b32 v111, v75 :: v_dual_mov_b32 v110, v79
	v_mad_nc_u64_u32 v[110:111], 0x4e441529, v74, v[110:111]
	s_delay_alu instid0(VALU_DEP_1) | instskip(NEXT) | instid1(VALU_DEP_1)
	v_mov_b32_e32 v66, v111
	v_mad_nc_u64_u32 v[66:67], 0xa2f9836e, v74, v[66:67]
	s_delay_alu instid0(VALU_DEP_3) | instskip(NEXT) | instid1(VALU_DEP_2)
	v_cndmask_b32_e32 v11, v110, v76, vcc_lo
	v_cndmask_b32_e32 v13, v66, v78, vcc_lo
	s_delay_alu instid0(VALU_DEP_3) | instskip(SKIP_1) | instid1(VALU_DEP_2)
	v_dual_cndmask_b32 v66, v67, v110 :: v_dual_cndmask_b32 v67, v78, v68
	v_dual_cndmask_b32 v6, v76, v12 :: v_dual_add_nc_u32 v5, v6, v5
	v_dual_cndmask_b32 v12, v13, v11, s8 :: v_dual_cndmask_b32 v13, v66, v13, s8
	s_delay_alu instid0(VALU_DEP_3) | instskip(NEXT) | instid1(VALU_DEP_3)
	v_cndmask_b32_e64 v11, v11, v67, s8
	v_cmp_eq_u32_e32 vcc_lo, 0, v5
	s_delay_alu instid0(VALU_DEP_4) | instskip(NEXT) | instid1(VALU_DEP_3)
	v_dual_cndmask_b32 v67, v67, v6, s8 :: v_dual_sub_nc_u32 v66, 32, v5
	v_dual_cndmask_b32 v13, v13, v12, s9 :: v_dual_cndmask_b32 v12, v12, v11, s9
	s_delay_alu instid0(VALU_DEP_2) | instskip(NEXT) | instid1(VALU_DEP_2)
	v_dual_cndmask_b32 v6, v6, v10, s8 :: v_dual_cndmask_b32 v11, v11, v67, s9
	v_alignbit_b32 v69, v13, v12, v66
	s_delay_alu instid0(VALU_DEP_1) | instskip(NEXT) | instid1(VALU_DEP_3)
	v_dual_cndmask_b32 v6, v67, v6, s9 :: v_dual_cndmask_b32 v5, v69, v13, vcc_lo
	v_alignbit_b32 v68, v12, v11, v66
	s_delay_alu instid0(VALU_DEP_2) | instskip(NEXT) | instid1(VALU_DEP_2)
	v_alignbit_b32 v66, v11, v6, v66
	v_cndmask_b32_e32 v10, v68, v12, vcc_lo
	s_delay_alu instid0(VALU_DEP_4) | instskip(NEXT) | instid1(VALU_DEP_3)
	v_bfe_u32 v12, v5, 29, 1
	v_cndmask_b32_e32 v11, v66, v11, vcc_lo
	s_delay_alu instid0(VALU_DEP_3) | instskip(NEXT) | instid1(VALU_DEP_3)
	v_alignbit_b32 v13, v5, v10, 30
	v_sub_nc_u32_e32 v67, 0, v12
	s_delay_alu instid0(VALU_DEP_3) | instskip(SKIP_1) | instid1(VALU_DEP_3)
	v_alignbit_b32 v10, v10, v11, 30
	v_alignbit_b32 v6, v11, v6, 30
	v_xor_b32_e32 v13, v13, v67
	s_delay_alu instid0(VALU_DEP_2) | instskip(NEXT) | instid1(VALU_DEP_2)
	v_xor_b32_e32 v6, v6, v67
	v_clz_i32_u32_e32 v66, v13
	s_delay_alu instid0(VALU_DEP_1) | instskip(SKIP_1) | instid1(VALU_DEP_2)
	v_min_u32_e32 v66, 32, v66
	v_dual_lshrrev_b32 v67, 29, v5 :: v_dual_bitop2_b32 v10, v10, v67 bitop3:0x14
	v_dual_lshrrev_b32 v5, 30, v5 :: v_dual_sub_nc_u32 v11, 31, v66
	v_lshlrev_b32_e32 v68, 23, v66
	s_delay_alu instid0(VALU_DEP_2) | instskip(SKIP_2) | instid1(VALU_DEP_2)
	v_alignbit_b32 v13, v13, v10, v11
	v_alignbit_b32 v6, v10, v6, v11
	v_lshlrev_b32_e32 v10, 31, v67
	v_alignbit_b32 v11, v13, v6, 9
	s_delay_alu instid0(VALU_DEP_2) | instskip(SKIP_1) | instid1(VALU_DEP_3)
	v_dual_lshrrev_b32 v13, 9, v13 :: v_dual_bitop2_b32 v67, 0.5, v10 bitop3:0x54
	v_or_b32_e32 v10, 0x33000000, v10
	v_clz_i32_u32_e32 v69, v11
	s_delay_alu instid0(VALU_DEP_3) | instskip(NEXT) | instid1(VALU_DEP_2)
	v_sub_nc_u32_e32 v67, v67, v68
	v_min_u32_e32 v68, 32, v69
	s_delay_alu instid0(VALU_DEP_1) | instskip(NEXT) | instid1(VALU_DEP_1)
	v_add_lshl_u32 v66, v68, v66, 23
	v_dual_sub_nc_u32 v10, v10, v66 :: v_dual_bitop2_b32 v13, v13, v67 bitop3:0x54
	v_not_b32_e32 v67, v68
	v_add_nc_u32_e32 v68, v12, v5
	s_delay_alu instid0(VALU_DEP_2) | instskip(NEXT) | instid1(VALU_DEP_1)
	v_alignbit_b32 v6, v11, v6, v67
	v_dual_mul_f32 v69, 0x3fc90fda, v13 :: v_dual_lshrrev_b32 v6, 9, v6
	s_delay_alu instid0(VALU_DEP_1) | instskip(NEXT) | instid1(VALU_DEP_2)
	v_or_b32_e32 v6, v10, v6
	v_fma_f32 v11, 0x3fc90fda, v13, -v69
	s_delay_alu instid0(VALU_DEP_1) | instskip(NEXT) | instid1(VALU_DEP_1)
	v_fmac_f32_e32 v11, 0x33a22168, v13
	v_fmac_f32_e32 v11, 0x3fc90fda, v6
	s_delay_alu instid0(VALU_DEP_1)
	v_add_f32_e32 v67, v69, v11
                                        ; implicit-def: $vgpr69
	s_and_not1_saveexec_b32 s8, s19
	s_cbranch_execnz .LBB0_46
	s_branch .LBB0_47
.LBB0_45:                               ;   in Loop: Header=BB0_28 Depth=1
	s_and_not1_saveexec_b32 s8, s19
.LBB0_46:                               ;   in Loop: Header=BB0_28 Depth=1
	v_fma_f32 v67, 0xbfc90fda, v69, |v62|
	v_cvt_i32_f32_e32 v68, v69
	s_delay_alu instid0(VALU_DEP_2) | instskip(NEXT) | instid1(VALU_DEP_1)
	v_fmac_f32_e32 v67, 0xb3a22168, v69
	v_fmac_f32_e32 v67, 0xa7c234c4, v69
.LBB0_47:                               ;   in Loop: Header=BB0_28 Depth=1
	s_or_b32 exec_lo, exec_lo, s8
	v_dual_mul_f32 v5, v62, v62 :: v_dual_mul_f32 v10, v64, v64
	s_delay_alu instid0(VALU_DEP_2) | instskip(SKIP_1) | instid1(VALU_DEP_3)
	v_dual_mul_f32 v13, v67, v67 :: v_dual_bitop2_b32 v11, 1, v65 bitop3:0x40
	v_lshlrev_b32_e32 v12, 30, v65
	v_cmp_gt_f32_e32 vcc_lo, 0x800000, v5
	v_dual_lshlrev_b32 v65, 30, v68 :: v_dual_bitop2_b32 v63, v63, v62 bitop3:0x14
	s_delay_alu instid0(VALU_DEP_4) | instskip(SKIP_2) | instid1(VALU_DEP_4)
	v_cmp_eq_u32_e64 s8, 0, v11
	v_cndmask_b32_e64 v6, 0, 32, vcc_lo
	v_cndmask_b32_e64 v11, 0, 0x411a209b, vcc_lo
	v_and_b32_e32 v65, 0x80000000, v65
	s_delay_alu instid0(VALU_DEP_3) | instskip(SKIP_2) | instid1(VALU_DEP_3)
	v_ldexp_f32 v5, v5, v6
	v_and_b32_e32 v6, 1, v68
	v_dual_fmaak_f32 v66, s36, v10, 0x3c0881c4 :: v_dual_fmaak_f32 v69, s36, v13, 0x3c0881c4
	v_log_f32_e32 v5, v5
	s_delay_alu instid0(VALU_DEP_1) | instskip(SKIP_1) | instid1(TRANS32_DEP_1)
	v_dual_fmaak_f32 v66, v10, v66, 0xbe2aaa9d :: v_dual_fmaak_f32 v69, v13, v69, 0xbe2aaa9d
	v_fmaak_f32 v68, s38, v10, 0xbab64f3b
	v_mul_f32_e32 v76, 0x3e9a209a, v5
	s_delay_alu instid0(VALU_DEP_2) | instskip(SKIP_1) | instid1(VALU_DEP_3)
	v_dual_mul_f32 v69, v13, v69 :: v_dual_fmaak_f32 v68, v10, v68, 0x3d2aabf7
	v_cmp_gt_f32_e64 vcc_lo, 0x7f800000, |v5|
	v_fma_f32 v76, 0x3e9a209a, v5, -v76
	s_delay_alu instid0(VALU_DEP_3) | instskip(NEXT) | instid1(VALU_DEP_4)
	v_dual_fmac_f32 v67, v67, v69 :: v_dual_mul_f32 v66, v10, v66
	v_fmaak_f32 v68, v10, v68, 0xbf000004
	s_delay_alu instid0(VALU_DEP_3) | instskip(NEXT) | instid1(VALU_DEP_2)
	v_fmac_f32_e32 v76, 0x3284fbcf, v5
	v_fma_f32 v10, v10, v68, 1.0
	s_delay_alu instid0(VALU_DEP_2) | instskip(NEXT) | instid1(VALU_DEP_1)
	v_fmac_f32_e32 v76, 0x3e9a209a, v5
	v_dual_fmac_f32 v64, v64, v66 :: v_dual_cndmask_b32 v5, v5, v76
	s_delay_alu instid0(VALU_DEP_1)
	v_cndmask_b32_e64 v10, -v64, v10, s8
	v_cmp_class_f32_e64 vcc_lo, v62, 0x1f8
	v_fmaak_f32 v74, s38, v13, 0xbab64f3b
	v_cmp_eq_u32_e64 s8, 0, v6
	v_sub_f32_e32 v5, v5, v11
	v_bitop3_b32 v10, v12, v10, 0x80000000 bitop3:0x6c
	s_delay_alu instid0(VALU_DEP_1) | instskip(NEXT) | instid1(VALU_DEP_1)
	v_cndmask_b32_e32 v10, 0x7fc00000, v10, vcc_lo
	v_add_f32_e32 v5, v5, v10
	v_fmaak_f32 v74, v13, v74, 0x3d2aabf7
	s_delay_alu instid0(VALU_DEP_1) | instskip(NEXT) | instid1(VALU_DEP_1)
	v_fmaak_f32 v74, v13, v74, 0xbf000004
	v_fma_f32 v13, v13, v74, 1.0
	s_delay_alu instid0(VALU_DEP_1) | instskip(NEXT) | instid1(VALU_DEP_1)
	v_cndmask_b32_e64 v6, v13, v67, s8
	v_xor3_b32 v6, v63, v65, v6
	s_delay_alu instid0(VALU_DEP_1) | instskip(NEXT) | instid1(VALU_DEP_1)
	v_dual_mul_f32 v63, v15, v5 :: v_dual_mul_f32 v6, 0x40490fdb, v6
	v_cndmask_b32_e32 v6, 0x7fc00000, v6, vcc_lo
	s_delay_alu instid0(VALU_DEP_1)
	v_sub_f32_e32 v62, v5, v6
.LBB0_48:                               ;   in Loop: Header=BB0_28 Depth=1
	s_or_b32 exec_lo, exec_lo, s18
.LBB0_49:                               ;   in Loop: Header=BB0_28 Depth=1
	s_and_not1_saveexec_b32 s17, s17
	s_cbranch_execz .LBB0_55
; %bb.50:                               ;   in Loop: Header=BB0_28 Depth=1
	s_wait_loadcnt 0x0
	v_mul_f32_e32 v62, v16, v18
                                        ; implicit-def: $vgpr63
                                        ; implicit-def: $vgpr6
	s_mov_b32 s9, exec_lo
	s_delay_alu instid0(VALU_DEP_1)
	v_cmpx_ngt_f32_e64 0x48000000, |v62|
	s_xor_b32 s18, exec_lo, s9
	s_cbranch_execz .LBB0_52
; %bb.51:                               ;   in Loop: Header=BB0_28 Depth=1
	v_and_b32_e32 v5, 0x7fffffff, v62
	v_dual_mov_b32 v77, v75 :: v_dual_mov_b32 v79, v75
	s_delay_alu instid0(VALU_DEP_2) | instskip(SKIP_1) | instid1(VALU_DEP_2)
	v_and_or_b32 v74, v5, s33, 0x800000
	v_lshrrev_b32_e32 v5, 23, v5
	v_mul_u64_e32 v[10:11], s[34:35], v[74:75]
	v_mov_b32_e32 v13, v75
	s_delay_alu instid0(VALU_DEP_3) | instskip(NEXT) | instid1(VALU_DEP_1)
	v_add_nc_u32_e32 v5, 0xffffff88, v5
	v_cmp_lt_u32_e32 vcc_lo, 63, v5
	v_cndmask_b32_e64 v6, 0, 0xffffffc0, vcc_lo
	s_delay_alu instid0(VALU_DEP_1) | instskip(NEXT) | instid1(VALU_DEP_1)
	v_add_nc_u32_e32 v5, v6, v5
	v_cmp_lt_u32_e64 s8, 31, v5
	s_delay_alu instid0(VALU_DEP_1) | instskip(NEXT) | instid1(VALU_DEP_1)
	v_cndmask_b32_e64 v6, 0, 0xffffffe0, s8
	v_dual_mov_b32 v12, v11 :: v_dual_add_nc_u32 v5, v6, v5
	s_delay_alu instid0(VALU_DEP_1) | instskip(SKIP_1) | instid1(VALU_DEP_3)
	v_mad_nc_u64_u32 v[12:13], 0x3c439041, v74, v[12:13]
	v_mov_b32_e32 v65, v75
	v_cmp_lt_u32_e64 s9, 31, v5
	s_delay_alu instid0(VALU_DEP_1) | instskip(NEXT) | instid1(VALU_DEP_1)
	v_cndmask_b32_e64 v6, 0, 0xffffffe0, s9
	v_dual_mov_b32 v64, v13 :: v_dual_add_nc_u32 v5, v6, v5
	s_delay_alu instid0(VALU_DEP_1) | instskip(NEXT) | instid1(VALU_DEP_1)
	v_mad_nc_u64_u32 v[64:65], 0xdb629599, v74, v[64:65]
	v_dual_mov_b32 v67, v75 :: v_dual_mov_b32 v66, v65
	s_delay_alu instid0(VALU_DEP_1) | instskip(NEXT) | instid1(VALU_DEP_1)
	v_mad_nc_u64_u32 v[66:67], 0xf534ddc0, v74, v[66:67]
	v_dual_mov_b32 v69, v75 :: v_dual_mov_b32 v68, v67
	s_delay_alu instid0(VALU_DEP_1) | instskip(NEXT) | instid1(VALU_DEP_1)
	v_mad_nc_u64_u32 v[68:69], 0xfc2757d1, v74, v[68:69]
	v_mov_b32_e32 v76, v69
	s_delay_alu instid0(VALU_DEP_1) | instskip(NEXT) | instid1(VALU_DEP_1)
	v_mad_nc_u64_u32 v[76:77], 0x4e441529, v74, v[76:77]
	v_mov_b32_e32 v78, v77
	s_delay_alu instid0(VALU_DEP_1) | instskip(NEXT) | instid1(VALU_DEP_1)
	v_mad_nc_u64_u32 v[78:79], 0xa2f9836e, v74, v[78:79]
	v_dual_cndmask_b32 v11, v76, v66, vcc_lo :: v_dual_cndmask_b32 v13, v78, v68, vcc_lo
	s_delay_alu instid0(VALU_DEP_2) | instskip(SKIP_1) | instid1(VALU_DEP_3)
	v_cndmask_b32_e32 v63, v79, v76, vcc_lo
	v_cndmask_b32_e32 v65, v68, v64, vcc_lo
	v_dual_cndmask_b32 v6, v66, v12, vcc_lo :: v_dual_cndmask_b32 v12, v13, v11, s8
	s_delay_alu instid0(VALU_DEP_3) | instskip(NEXT) | instid1(VALU_DEP_2)
	v_cndmask_b32_e64 v13, v63, v13, s8
	v_dual_cndmask_b32 v11, v11, v65, s8 :: v_dual_cndmask_b32 v65, v65, v6, s8
	s_delay_alu instid0(VALU_DEP_2) | instskip(NEXT) | instid1(VALU_DEP_2)
	v_dual_sub_nc_u32 v63, 32, v5 :: v_dual_cndmask_b32 v13, v13, v12, s9
	v_dual_cndmask_b32 v12, v12, v11, s9 :: v_dual_cndmask_b32 v11, v11, v65, s9
	s_delay_alu instid0(VALU_DEP_1) | instskip(SKIP_2) | instid1(VALU_DEP_4)
	v_alignbit_b32 v66, v13, v12, v63
	v_cndmask_b32_e32 v10, v64, v10, vcc_lo
	v_cmp_eq_u32_e32 vcc_lo, 0, v5
	v_alignbit_b32 v64, v12, v11, v63
	s_delay_alu instid0(VALU_DEP_4) | instskip(NEXT) | instid1(VALU_DEP_2)
	v_cndmask_b32_e32 v5, v66, v13, vcc_lo
	v_dual_cndmask_b32 v6, v6, v10, s8 :: v_dual_cndmask_b32 v10, v64, v12, vcc_lo
	s_delay_alu instid0(VALU_DEP_2) | instskip(NEXT) | instid1(VALU_DEP_2)
	v_bfe_u32 v12, v5, 29, 1
	v_cndmask_b32_e64 v6, v65, v6, s9
	s_delay_alu instid0(VALU_DEP_3) | instskip(NEXT) | instid1(VALU_DEP_3)
	v_alignbit_b32 v13, v5, v10, 30
	v_sub_nc_u32_e32 v64, 0, v12
	s_delay_alu instid0(VALU_DEP_3) | instskip(NEXT) | instid1(VALU_DEP_1)
	v_alignbit_b32 v63, v11, v6, v63
	v_dual_cndmask_b32 v11, v63, v11, vcc_lo :: v_dual_bitop2_b32 v13, v13, v64 bitop3:0x14
	s_delay_alu instid0(VALU_DEP_1) | instskip(NEXT) | instid1(VALU_DEP_2)
	v_clz_i32_u32_e32 v63, v13
	v_alignbit_b32 v10, v10, v11, 30
	v_alignbit_b32 v6, v11, v6, 30
	s_delay_alu instid0(VALU_DEP_3) | instskip(NEXT) | instid1(VALU_DEP_3)
	v_min_u32_e32 v63, 32, v63
	v_xor_b32_e32 v10, v10, v64
	s_delay_alu instid0(VALU_DEP_3) | instskip(NEXT) | instid1(VALU_DEP_3)
	v_dual_lshrrev_b32 v64, 29, v5 :: v_dual_bitop2_b32 v6, v6, v64 bitop3:0x14
	v_dual_lshrrev_b32 v5, 30, v5 :: v_dual_sub_nc_u32 v11, 31, v63
	v_lshlrev_b32_e32 v65, 23, v63
	s_delay_alu instid0(VALU_DEP_2) | instskip(NEXT) | instid1(VALU_DEP_4)
	v_alignbit_b32 v13, v13, v10, v11
	v_alignbit_b32 v6, v10, v6, v11
	v_lshlrev_b32_e32 v10, 31, v64
	s_delay_alu instid0(VALU_DEP_2) | instskip(NEXT) | instid1(VALU_DEP_2)
	v_alignbit_b32 v11, v13, v6, 9
	v_dual_lshrrev_b32 v13, 9, v13 :: v_dual_bitop2_b32 v64, 0.5, v10 bitop3:0x54
	v_or_b32_e32 v10, 0x33000000, v10
	s_delay_alu instid0(VALU_DEP_3) | instskip(NEXT) | instid1(VALU_DEP_3)
	v_clz_i32_u32_e32 v66, v11
	v_sub_nc_u32_e32 v64, v64, v65
	s_delay_alu instid0(VALU_DEP_2) | instskip(NEXT) | instid1(VALU_DEP_1)
	v_min_u32_e32 v65, 32, v66
	v_add_lshl_u32 v63, v65, v63, 23
	s_delay_alu instid0(VALU_DEP_1) | instskip(SKIP_2) | instid1(VALU_DEP_2)
	v_dual_sub_nc_u32 v10, v10, v63 :: v_dual_bitop2_b32 v13, v13, v64 bitop3:0x54
	v_not_b32_e32 v64, v65
	v_add_nc_u32_e32 v63, v12, v5
	v_alignbit_b32 v6, v11, v6, v64
	s_delay_alu instid0(VALU_DEP_1) | instskip(NEXT) | instid1(VALU_DEP_1)
	v_lshrrev_b32_e32 v6, 9, v6
	v_or_b32_e32 v6, v10, v6
	v_mul_f32_e32 v66, 0x3fc90fda, v13
	s_delay_alu instid0(VALU_DEP_1) | instskip(NEXT) | instid1(VALU_DEP_1)
	v_fma_f32 v11, 0x3fc90fda, v13, -v66
	v_fmac_f32_e32 v11, 0x33a22168, v13
	s_delay_alu instid0(VALU_DEP_1) | instskip(NEXT) | instid1(VALU_DEP_1)
	v_fmac_f32_e32 v11, 0x3fc90fda, v6
	v_add_f32_e32 v6, v66, v11
.LBB0_52:                               ;   in Loop: Header=BB0_28 Depth=1
	s_and_not1_saveexec_b32 s8, s18
; %bb.53:                               ;   in Loop: Header=BB0_28 Depth=1
	v_mul_f32_e64 v5, 0x3f22f983, |v62|
	s_delay_alu instid0(VALU_DEP_1) | instskip(NEXT) | instid1(VALU_DEP_1)
	v_rndne_f32_e32 v5, v5
	v_fma_f32 v6, 0xbfc90fda, v5, |v62|
	v_cvt_i32_f32_e32 v63, v5
	s_delay_alu instid0(VALU_DEP_2) | instskip(NEXT) | instid1(VALU_DEP_1)
	v_fmac_f32_e32 v6, 0xb3a22168, v5
	v_fmac_f32_e32 v6, 0xa7c234c4, v5
; %bb.54:                               ;   in Loop: Header=BB0_28 Depth=1
	s_or_b32 exec_lo, exec_lo, s8
	s_delay_alu instid0(VALU_DEP_1) | instskip(NEXT) | instid1(VALU_DEP_1)
	v_dual_mul_f32 v5, v6, v6 :: v_dual_bitop2_b32 v12, 1, v63 bitop3:0x40
	v_fmaak_f32 v10, s36, v5, 0x3c0881c4
	s_delay_alu instid0(VALU_DEP_2) | instskip(NEXT) | instid1(VALU_DEP_2)
	v_cmp_eq_u32_e32 vcc_lo, 0, v12
	v_fmaak_f32 v10, v5, v10, 0xbe2aaa9d
	s_delay_alu instid0(VALU_DEP_1) | instskip(NEXT) | instid1(VALU_DEP_1)
	v_dual_fmaak_f32 v11, s38, v5, 0xbab64f3b :: v_dual_mul_f32 v10, v5, v10
	v_dual_fmaak_f32 v11, v5, v11, 0x3d2aabf7 :: v_dual_fmac_f32 v6, v6, v10
	s_delay_alu instid0(VALU_DEP_1) | instskip(NEXT) | instid1(VALU_DEP_1)
	v_fmaak_f32 v11, v5, v11, 0xbf000004
	v_fma_f32 v5, v5, v11, 1.0
	v_dual_mov_b32 v63, v15 :: v_dual_lshlrev_b32 v10, 30, v63
	s_delay_alu instid0(VALU_DEP_2) | instskip(SKIP_1) | instid1(VALU_DEP_2)
	v_cndmask_b32_e64 v5, -v6, v5, vcc_lo
	v_cmp_class_f32_e64 vcc_lo, v62, 0x1f8
	v_bitop3_b32 v5, v10, v5, 0x80000000 bitop3:0x6c
	s_delay_alu instid0(VALU_DEP_1) | instskip(NEXT) | instid1(VALU_DEP_1)
	v_cndmask_b32_e32 v5, 0x7fc00000, v5, vcc_lo
	v_mul_f32_e32 v5, v18, v5
	s_delay_alu instid0(VALU_DEP_1) | instskip(SKIP_1) | instid1(VALU_DEP_2)
	v_div_scale_f32 v6, null, v5, v5, 1.0
	v_div_scale_f32 v12, vcc_lo, 1.0, v5, 1.0
	v_rcp_f32_e32 v10, v6
	v_nop
	s_delay_alu instid0(TRANS32_DEP_1) | instskip(NEXT) | instid1(VALU_DEP_1)
	v_fma_f32 v11, -v6, v10, 1.0
	v_fmac_f32_e32 v10, v11, v10
	s_delay_alu instid0(VALU_DEP_1) | instskip(NEXT) | instid1(VALU_DEP_1)
	v_mul_f32_e32 v11, v12, v10
	v_fma_f32 v13, -v6, v11, v12
	s_delay_alu instid0(VALU_DEP_1) | instskip(NEXT) | instid1(VALU_DEP_1)
	v_fmac_f32_e32 v11, v13, v10
	v_fma_f32 v6, -v6, v11, v12
	s_delay_alu instid0(VALU_DEP_1) | instskip(NEXT) | instid1(VALU_DEP_1)
	v_div_fmas_f32 v6, v6, v10, v11
	v_div_fixup_f32 v62, v6, v5, 1.0
.LBB0_55:                               ;   in Loop: Header=BB0_28 Depth=1
	s_or_b32 exec_lo, exec_lo, s17
                                        ; implicit-def: $vgpr6
.LBB0_56:                               ;   in Loop: Header=BB0_28 Depth=1
	s_and_not1_saveexec_b32 s16, s16
	s_cbranch_execz .LBB0_82
; %bb.57:                               ;   in Loop: Header=BB0_28 Depth=1
                                        ; implicit-def: $vgpr63
	s_mov_b32 s8, exec_lo
	v_cmpx_lt_i32_e32 44, v6
	s_xor_b32 s17, exec_lo, s8
	s_cbranch_execz .LBB0_75
; %bb.58:                               ;   in Loop: Header=BB0_28 Depth=1
	global_load_b32 v5, v[118:119], off
                                        ; implicit-def: $vgpr65
                                        ; implicit-def: $vgpr64
	s_wait_loadcnt 0x0
	v_mul_f32_e32 v5, v16, v5
	s_delay_alu instid0(VALU_DEP_1) | instskip(NEXT) | instid1(VALU_DEP_1)
	v_mul_f32_e32 v62, v18, v5
	v_and_b32_e32 v63, 0x7fffffff, v62
	s_delay_alu instid0(VALU_DEP_1) | instskip(SKIP_2) | instid1(VALU_DEP_3)
	v_lshrrev_b32_e32 v5, 23, v63
	v_cmp_ngt_f32_e64 s18, 0x48000000, |v62|
	v_and_or_b32 v74, v63, s33, 0x800000
	v_add_nc_u32_e32 v66, 0xffffff88, v5
	s_wait_xcnt 0x0
	s_and_saveexec_b32 s8, s18
	s_delay_alu instid0(SALU_CYCLE_1)
	s_xor_b32 s19, exec_lo, s8
	s_cbranch_execz .LBB0_60
; %bb.59:                               ;   in Loop: Header=BB0_28 Depth=1
	v_mul_u64_e32 v[10:11], s[34:35], v[74:75]
	v_mov_b32_e32 v13, v75
	v_cmp_lt_u32_e32 vcc_lo, 63, v66
	v_mov_b32_e32 v111, v75
	v_cndmask_b32_e64 v5, 0, 0xffffffc0, vcc_lo
	s_delay_alu instid0(VALU_DEP_1) | instskip(NEXT) | instid1(VALU_DEP_1)
	v_add_nc_u32_e32 v5, v5, v66
	v_cmp_lt_u32_e64 s8, 31, v5
	s_delay_alu instid0(VALU_DEP_1) | instskip(NEXT) | instid1(VALU_DEP_1)
	v_cndmask_b32_e64 v6, 0, 0xffffffe0, s8
	v_dual_mov_b32 v12, v11 :: v_dual_add_nc_u32 v5, v6, v5
	s_delay_alu instid0(VALU_DEP_1) | instskip(NEXT) | instid1(VALU_DEP_2)
	v_cmp_lt_u32_e64 s9, 31, v5
	v_mad_nc_u64_u32 v[12:13], 0x3c439041, v74, v[12:13]
	v_mov_b32_e32 v65, v75
	s_delay_alu instid0(VALU_DEP_3) | instskip(NEXT) | instid1(VALU_DEP_1)
	v_cndmask_b32_e64 v6, 0, 0xffffffe0, s9
	v_dual_mov_b32 v64, v13 :: v_dual_add_nc_u32 v5, v6, v5
	s_delay_alu instid0(VALU_DEP_1) | instskip(NEXT) | instid1(VALU_DEP_1)
	v_mad_nc_u64_u32 v[64:65], 0xdb629599, v74, v[64:65]
	v_dual_mov_b32 v69, v75 :: v_dual_mov_b32 v68, v65
	s_delay_alu instid0(VALU_DEP_2) | instskip(NEXT) | instid1(VALU_DEP_2)
	v_cndmask_b32_e32 v10, v64, v10, vcc_lo
	v_mad_nc_u64_u32 v[68:69], 0xf534ddc0, v74, v[68:69]
	s_delay_alu instid0(VALU_DEP_1) | instskip(NEXT) | instid1(VALU_DEP_1)
	v_dual_mov_b32 v77, v75 :: v_dual_mov_b32 v76, v69
	v_mad_nc_u64_u32 v[76:77], 0xfc2757d1, v74, v[76:77]
	s_delay_alu instid0(VALU_DEP_1) | instskip(NEXT) | instid1(VALU_DEP_2)
	v_dual_mov_b32 v79, v75 :: v_dual_mov_b32 v78, v77
	v_cndmask_b32_e32 v67, v76, v64, vcc_lo
	s_delay_alu instid0(VALU_DEP_2) | instskip(NEXT) | instid1(VALU_DEP_1)
	v_mad_nc_u64_u32 v[78:79], 0x4e441529, v74, v[78:79]
	v_mov_b32_e32 v110, v79
	s_delay_alu instid0(VALU_DEP_1) | instskip(NEXT) | instid1(VALU_DEP_1)
	v_mad_nc_u64_u32 v[110:111], 0xa2f9836e, v74, v[110:111]
	v_dual_cndmask_b32 v11, v78, v68, vcc_lo :: v_dual_cndmask_b32 v65, v111, v78, vcc_lo
	s_delay_alu instid0(VALU_DEP_2) | instskip(SKIP_2) | instid1(VALU_DEP_3)
	v_cndmask_b32_e32 v13, v110, v76, vcc_lo
	v_cndmask_b32_e32 v6, v68, v12, vcc_lo
	v_cmp_eq_u32_e32 vcc_lo, 0, v5
	v_cndmask_b32_e64 v12, v13, v11, s8
	v_dual_cndmask_b32 v11, v11, v67, s8 :: v_dual_cndmask_b32 v13, v65, v13, s8
	s_delay_alu instid0(VALU_DEP_4) | instskip(NEXT) | instid1(VALU_DEP_2)
	v_dual_cndmask_b32 v67, v67, v6, s8 :: v_dual_sub_nc_u32 v65, 32, v5
	v_dual_cndmask_b32 v6, v6, v10, s8 :: v_dual_cndmask_b32 v13, v13, v12, s9
	s_delay_alu instid0(VALU_DEP_1) | instskip(NEXT) | instid1(VALU_DEP_1)
	v_dual_cndmask_b32 v12, v12, v11, s9 :: v_dual_cndmask_b32 v6, v67, v6, s9
	v_alignbit_b32 v68, v13, v12, v65
	s_delay_alu instid0(VALU_DEP_1) | instskip(NEXT) | instid1(VALU_DEP_1)
	v_dual_cndmask_b32 v11, v11, v67, s9 :: v_dual_cndmask_b32 v5, v68, v13, vcc_lo
	v_alignbit_b32 v64, v12, v11, v65
	s_delay_alu instid0(VALU_DEP_4) | instskip(NEXT) | instid1(VALU_DEP_2)
	v_alignbit_b32 v65, v11, v6, v65
	v_cndmask_b32_e32 v10, v64, v12, vcc_lo
	s_delay_alu instid0(VALU_DEP_4) | instskip(NEXT) | instid1(VALU_DEP_2)
	v_bfe_u32 v12, v5, 29, 1
	v_alignbit_b32 v13, v5, v10, 30
	s_delay_alu instid0(VALU_DEP_2) | instskip(NEXT) | instid1(VALU_DEP_1)
	v_dual_cndmask_b32 v11, v65, v11 :: v_dual_sub_nc_u32 v64, 0, v12
	v_xor_b32_e32 v13, v13, v64
	s_delay_alu instid0(VALU_DEP_2) | instskip(NEXT) | instid1(VALU_DEP_2)
	v_alignbit_b32 v10, v10, v11, 30
	v_clz_i32_u32_e32 v65, v13
	s_delay_alu instid0(VALU_DEP_2) | instskip(SKIP_1) | instid1(VALU_DEP_3)
	v_xor_b32_e32 v10, v10, v64
	v_alignbit_b32 v6, v11, v6, 30
	v_min_u32_e32 v65, 32, v65
	s_delay_alu instid0(VALU_DEP_2) | instskip(SKIP_1) | instid1(VALU_DEP_3)
	v_dual_lshrrev_b32 v64, 29, v5 :: v_dual_bitop2_b32 v6, v6, v64 bitop3:0x14
	v_lshrrev_b32_e32 v5, 30, v5
	v_dual_sub_nc_u32 v11, 31, v65 :: v_dual_lshlrev_b32 v67, 23, v65
	s_delay_alu instid0(VALU_DEP_1) | instskip(NEXT) | instid1(VALU_DEP_4)
	v_alignbit_b32 v13, v13, v10, v11
	v_alignbit_b32 v6, v10, v6, v11
	v_lshlrev_b32_e32 v10, 31, v64
	s_delay_alu instid0(VALU_DEP_2) | instskip(NEXT) | instid1(VALU_DEP_2)
	v_alignbit_b32 v11, v13, v6, 9
	v_dual_lshrrev_b32 v13, 9, v13 :: v_dual_bitop2_b32 v64, 0.5, v10 bitop3:0x54
	v_or_b32_e32 v10, 0x33000000, v10
	s_delay_alu instid0(VALU_DEP_3) | instskip(NEXT) | instid1(VALU_DEP_3)
	v_clz_i32_u32_e32 v68, v11
	v_sub_nc_u32_e32 v64, v64, v67
	s_delay_alu instid0(VALU_DEP_2) | instskip(NEXT) | instid1(VALU_DEP_1)
	v_min_u32_e32 v67, 32, v68
	v_add_lshl_u32 v65, v67, v65, 23
	s_delay_alu instid0(VALU_DEP_1) | instskip(SKIP_2) | instid1(VALU_DEP_2)
	v_dual_sub_nc_u32 v10, v10, v65 :: v_dual_bitop2_b32 v13, v13, v64 bitop3:0x54
	v_not_b32_e32 v64, v67
	v_add_nc_u32_e32 v65, v12, v5
	v_alignbit_b32 v6, v11, v6, v64
	s_delay_alu instid0(VALU_DEP_1) | instskip(NEXT) | instid1(VALU_DEP_1)
	v_lshrrev_b32_e32 v6, 9, v6
	v_or_b32_e32 v6, v10, v6
	v_mul_f32_e32 v68, 0x3fc90fda, v13
	s_delay_alu instid0(VALU_DEP_1) | instskip(NEXT) | instid1(VALU_DEP_1)
	v_fma_f32 v11, 0x3fc90fda, v13, -v68
	v_fmac_f32_e32 v11, 0x33a22168, v13
	s_delay_alu instid0(VALU_DEP_1) | instskip(NEXT) | instid1(VALU_DEP_1)
	v_fmac_f32_e32 v11, 0x3fc90fda, v6
	v_add_f32_e32 v64, v68, v11
.LBB0_60:                               ;   in Loop: Header=BB0_28 Depth=1
	s_or_saveexec_b32 s8, s19
	v_mul_f32_e64 v5, 0x3f22f983, |v62|
	s_delay_alu instid0(VALU_DEP_1)
	v_rndne_f32_e32 v69, v5
	s_xor_b32 exec_lo, exec_lo, s8
; %bb.61:                               ;   in Loop: Header=BB0_28 Depth=1
	s_delay_alu instid0(VALU_DEP_1) | instskip(SKIP_1) | instid1(VALU_DEP_2)
	v_fma_f32 v64, 0xbfc90fda, v69, |v62|
	v_cvt_i32_f32_e32 v65, v69
	v_fmac_f32_e32 v64, 0xb3a22168, v69
	s_delay_alu instid0(VALU_DEP_1)
	v_fmac_f32_e32 v64, 0xa7c234c4, v69
; %bb.62:                               ;   in Loop: Header=BB0_28 Depth=1
	s_or_b32 exec_lo, exec_lo, s8
                                        ; implicit-def: $vgpr68
                                        ; implicit-def: $vgpr67
	s_and_saveexec_b32 s8, s18
	s_delay_alu instid0(SALU_CYCLE_1)
	s_xor_b32 s19, exec_lo, s8
	s_cbranch_execz .LBB0_64
; %bb.63:                               ;   in Loop: Header=BB0_28 Depth=1
	v_mul_u64_e32 v[10:11], s[34:35], v[74:75]
	v_mov_b32_e32 v13, v75
	v_cmp_lt_u32_e32 vcc_lo, 63, v66
	v_mov_b32_e32 v115, v75
	v_cndmask_b32_e64 v5, 0, 0xffffffc0, vcc_lo
	s_delay_alu instid0(VALU_DEP_1) | instskip(NEXT) | instid1(VALU_DEP_1)
	v_add_nc_u32_e32 v5, v5, v66
	v_cmp_lt_u32_e64 s8, 31, v5
	s_delay_alu instid0(VALU_DEP_1) | instskip(NEXT) | instid1(VALU_DEP_1)
	v_cndmask_b32_e64 v6, 0, 0xffffffe0, s8
	v_dual_mov_b32 v12, v11 :: v_dual_add_nc_u32 v5, v6, v5
	s_delay_alu instid0(VALU_DEP_1) | instskip(NEXT) | instid1(VALU_DEP_2)
	v_cmp_lt_u32_e64 s9, 31, v5
	v_mad_nc_u64_u32 v[12:13], 0x3c439041, v74, v[12:13]
	v_mov_b32_e32 v77, v75
	s_delay_alu instid0(VALU_DEP_3) | instskip(NEXT) | instid1(VALU_DEP_3)
	v_cndmask_b32_e64 v6, 0, 0xffffffe0, s9
	v_mov_b32_e32 v76, v13
	s_delay_alu instid0(VALU_DEP_1) | instskip(NEXT) | instid1(VALU_DEP_1)
	v_mad_nc_u64_u32 v[76:77], 0xdb629599, v74, v[76:77]
	v_dual_mov_b32 v79, v75 :: v_dual_mov_b32 v78, v77
	s_delay_alu instid0(VALU_DEP_1) | instskip(NEXT) | instid1(VALU_DEP_1)
	v_mad_nc_u64_u32 v[78:79], 0xf534ddc0, v74, v[78:79]
	v_dual_mov_b32 v111, v75 :: v_dual_mov_b32 v110, v79
	;; [unrolled: 3-line block ×3, first 2 shown]
	s_delay_alu instid0(VALU_DEP_1) | instskip(NEXT) | instid1(VALU_DEP_1)
	v_mad_nc_u64_u32 v[112:113], 0x4e441529, v74, v[112:113]
	v_mov_b32_e32 v114, v113
	s_delay_alu instid0(VALU_DEP_1) | instskip(NEXT) | instid1(VALU_DEP_1)
	v_mad_nc_u64_u32 v[114:115], 0xa2f9836e, v74, v[114:115]
	v_dual_cndmask_b32 v11, v112, v78, vcc_lo :: v_dual_cndmask_b32 v67, v115, v112, vcc_lo
	v_cndmask_b32_e32 v68, v110, v76, vcc_lo
	s_delay_alu instid0(VALU_DEP_3) | instskip(SKIP_1) | instid1(VALU_DEP_2)
	v_cndmask_b32_e32 v13, v114, v110, vcc_lo
	v_add_nc_u32_e32 v5, v6, v5
	v_dual_cndmask_b32 v6, v78, v12, vcc_lo :: v_dual_cndmask_b32 v12, v13, v11, s8
	s_delay_alu instid0(VALU_DEP_4) | instskip(NEXT) | instid1(VALU_DEP_2)
	v_cndmask_b32_e64 v11, v11, v68, s8
	v_dual_cndmask_b32 v13, v67, v13, s8 :: v_dual_cndmask_b32 v68, v68, v6, s8
	s_delay_alu instid0(VALU_DEP_1) | instskip(NEXT) | instid1(VALU_DEP_2)
	v_dual_sub_nc_u32 v67, 32, v5 :: v_dual_cndmask_b32 v13, v13, v12, s9
	v_dual_cndmask_b32 v12, v12, v11, s9 :: v_dual_cndmask_b32 v11, v11, v68, s9
	s_delay_alu instid0(VALU_DEP_1) | instskip(SKIP_2) | instid1(VALU_DEP_4)
	v_alignbit_b32 v77, v13, v12, v67
	v_cndmask_b32_e32 v10, v76, v10, vcc_lo
	v_cmp_eq_u32_e32 vcc_lo, 0, v5
	v_alignbit_b32 v76, v12, v11, v67
	s_delay_alu instid0(VALU_DEP_3) | instskip(NEXT) | instid1(VALU_DEP_2)
	v_dual_cndmask_b32 v5, v77, v13, vcc_lo :: v_dual_cndmask_b32 v6, v6, v10, s8
	v_cndmask_b32_e32 v10, v76, v12, vcc_lo
	s_delay_alu instid0(VALU_DEP_2) | instskip(NEXT) | instid1(VALU_DEP_3)
	v_bfe_u32 v12, v5, 29, 1
	v_cndmask_b32_e64 v6, v68, v6, s9
	s_delay_alu instid0(VALU_DEP_3) | instskip(NEXT) | instid1(VALU_DEP_3)
	v_alignbit_b32 v13, v5, v10, 30
	v_sub_nc_u32_e32 v68, 0, v12
	s_delay_alu instid0(VALU_DEP_3) | instskip(NEXT) | instid1(VALU_DEP_1)
	v_alignbit_b32 v67, v11, v6, v67
	v_dual_cndmask_b32 v11, v67, v11, vcc_lo :: v_dual_bitop2_b32 v13, v13, v68 bitop3:0x14
	s_delay_alu instid0(VALU_DEP_1) | instskip(NEXT) | instid1(VALU_DEP_2)
	v_clz_i32_u32_e32 v67, v13
	v_alignbit_b32 v10, v10, v11, 30
	v_alignbit_b32 v6, v11, v6, 30
	s_delay_alu instid0(VALU_DEP_3) | instskip(NEXT) | instid1(VALU_DEP_3)
	v_min_u32_e32 v67, 32, v67
	v_xor_b32_e32 v10, v10, v68
	s_delay_alu instid0(VALU_DEP_3) | instskip(NEXT) | instid1(VALU_DEP_3)
	v_dual_lshrrev_b32 v68, 29, v5 :: v_dual_bitop2_b32 v6, v6, v68 bitop3:0x14
	v_dual_lshrrev_b32 v5, 30, v5 :: v_dual_sub_nc_u32 v11, 31, v67
	v_lshlrev_b32_e32 v76, 23, v67
	s_delay_alu instid0(VALU_DEP_2) | instskip(NEXT) | instid1(VALU_DEP_4)
	v_alignbit_b32 v13, v13, v10, v11
	v_alignbit_b32 v6, v10, v6, v11
	v_lshlrev_b32_e32 v10, 31, v68
	s_delay_alu instid0(VALU_DEP_2) | instskip(NEXT) | instid1(VALU_DEP_2)
	v_alignbit_b32 v11, v13, v6, 9
	v_dual_lshrrev_b32 v13, 9, v13 :: v_dual_bitop2_b32 v68, 0.5, v10 bitop3:0x54
	v_or_b32_e32 v10, 0x33000000, v10
	s_delay_alu instid0(VALU_DEP_3) | instskip(NEXT) | instid1(VALU_DEP_3)
	v_clz_i32_u32_e32 v77, v11
	v_sub_nc_u32_e32 v68, v68, v76
	s_delay_alu instid0(VALU_DEP_2) | instskip(NEXT) | instid1(VALU_DEP_1)
	v_min_u32_e32 v76, 32, v77
	v_add_lshl_u32 v67, v76, v67, 23
	s_delay_alu instid0(VALU_DEP_3) | instskip(SKIP_1) | instid1(VALU_DEP_2)
	v_or_b32_e32 v13, v13, v68
	v_not_b32_e32 v68, v76
	v_dual_mul_f32 v77, 0x3fc90fda, v13 :: v_dual_sub_nc_u32 v10, v10, v67
	s_delay_alu instid0(VALU_DEP_2) | instskip(SKIP_1) | instid1(VALU_DEP_3)
	v_alignbit_b32 v6, v11, v6, v68
	v_add_nc_u32_e32 v68, v12, v5
	v_fma_f32 v11, 0x3fc90fda, v13, -v77
	s_delay_alu instid0(VALU_DEP_1) | instskip(NEXT) | instid1(VALU_DEP_1)
	v_dual_fmac_f32 v11, 0x33a22168, v13 :: v_dual_lshrrev_b32 v6, 9, v6
	v_or_b32_e32 v6, v10, v6
	s_delay_alu instid0(VALU_DEP_1) | instskip(NEXT) | instid1(VALU_DEP_1)
	v_fmac_f32_e32 v11, 0x3fc90fda, v6
	v_add_f32_e32 v67, v77, v11
	s_and_not1_saveexec_b32 s8, s19
	s_branch .LBB0_65
.LBB0_64:                               ;   in Loop: Header=BB0_28 Depth=1
	s_and_not1_saveexec_b32 s8, s19
.LBB0_65:                               ;   in Loop: Header=BB0_28 Depth=1
	v_fma_f32 v67, 0xbfc90fda, v69, |v62|
	v_cvt_i32_f32_e32 v68, v69
	s_delay_alu instid0(VALU_DEP_2) | instskip(NEXT) | instid1(VALU_DEP_1)
	v_fmac_f32_e32 v67, 0xb3a22168, v69
	v_fmac_f32_e32 v67, 0xa7c234c4, v69
; %bb.66:                               ;   in Loop: Header=BB0_28 Depth=1
	s_or_b32 exec_lo, exec_lo, s8
                                        ; implicit-def: $vgpr110
                                        ; implicit-def: $vgpr109
	s_and_saveexec_b32 s8, s18
	s_delay_alu instid0(SALU_CYCLE_1)
	s_xor_b32 s19, exec_lo, s8
	s_cbranch_execz .LBB0_68
; %bb.67:                               ;   in Loop: Header=BB0_28 Depth=1
	v_mul_u64_e32 v[10:11], s[34:35], v[74:75]
	v_mov_b32_e32 v13, v75
	v_cmp_lt_u32_e32 vcc_lo, 63, v66
	v_mov_b32_e32 v115, v75
	v_cndmask_b32_e64 v5, 0, 0xffffffc0, vcc_lo
	s_delay_alu instid0(VALU_DEP_1) | instskip(NEXT) | instid1(VALU_DEP_1)
	v_add_nc_u32_e32 v5, v5, v66
	v_cmp_lt_u32_e64 s8, 31, v5
	s_delay_alu instid0(VALU_DEP_1) | instskip(NEXT) | instid1(VALU_DEP_1)
	v_cndmask_b32_e64 v6, 0, 0xffffffe0, s8
	v_dual_mov_b32 v12, v11 :: v_dual_add_nc_u32 v5, v6, v5
	s_delay_alu instid0(VALU_DEP_1) | instskip(NEXT) | instid1(VALU_DEP_2)
	v_cmp_lt_u32_e64 s9, 31, v5
	v_mad_nc_u64_u32 v[12:13], 0x3c439041, v74, v[12:13]
	v_mov_b32_e32 v77, v75
	s_delay_alu instid0(VALU_DEP_3) | instskip(NEXT) | instid1(VALU_DEP_3)
	v_cndmask_b32_e64 v6, 0, 0xffffffe0, s9
	v_mov_b32_e32 v76, v13
	s_delay_alu instid0(VALU_DEP_1) | instskip(NEXT) | instid1(VALU_DEP_1)
	v_mad_nc_u64_u32 v[76:77], 0xdb629599, v74, v[76:77]
	v_dual_mov_b32 v79, v75 :: v_dual_mov_b32 v78, v77
	s_delay_alu instid0(VALU_DEP_1) | instskip(NEXT) | instid1(VALU_DEP_1)
	v_mad_nc_u64_u32 v[78:79], 0xf534ddc0, v74, v[78:79]
	v_dual_mov_b32 v111, v75 :: v_dual_mov_b32 v110, v79
	;; [unrolled: 3-line block ×3, first 2 shown]
	s_delay_alu instid0(VALU_DEP_1) | instskip(NEXT) | instid1(VALU_DEP_1)
	v_mad_nc_u64_u32 v[112:113], 0x4e441529, v74, v[112:113]
	v_mov_b32_e32 v114, v113
	s_delay_alu instid0(VALU_DEP_1) | instskip(NEXT) | instid1(VALU_DEP_1)
	v_mad_nc_u64_u32 v[114:115], 0xa2f9836e, v74, v[114:115]
	v_dual_cndmask_b32 v11, v112, v78, vcc_lo :: v_dual_cndmask_b32 v77, v115, v112, vcc_lo
	v_cndmask_b32_e32 v79, v110, v76, vcc_lo
	s_delay_alu instid0(VALU_DEP_3) | instskip(SKIP_1) | instid1(VALU_DEP_2)
	v_cndmask_b32_e32 v13, v114, v110, vcc_lo
	v_add_nc_u32_e32 v5, v6, v5
	v_dual_cndmask_b32 v6, v78, v12, vcc_lo :: v_dual_cndmask_b32 v12, v13, v11, s8
	s_delay_alu instid0(VALU_DEP_4) | instskip(NEXT) | instid1(VALU_DEP_2)
	v_dual_cndmask_b32 v11, v11, v79, s8 :: v_dual_cndmask_b32 v13, v77, v13, s8
	v_dual_cndmask_b32 v78, v79, v6, s8 :: v_dual_sub_nc_u32 v77, 32, v5
	s_delay_alu instid0(VALU_DEP_2) | instskip(NEXT) | instid1(VALU_DEP_2)
	v_dual_cndmask_b32 v13, v13, v12, s9 :: v_dual_cndmask_b32 v12, v12, v11, s9
	v_cndmask_b32_e64 v11, v11, v78, s9
	s_delay_alu instid0(VALU_DEP_2) | instskip(SKIP_2) | instid1(VALU_DEP_4)
	v_alignbit_b32 v79, v13, v12, v77
	v_cndmask_b32_e32 v10, v76, v10, vcc_lo
	v_cmp_eq_u32_e32 vcc_lo, 0, v5
	v_alignbit_b32 v76, v12, v11, v77
	s_delay_alu instid0(VALU_DEP_3) | instskip(NEXT) | instid1(VALU_DEP_2)
	v_dual_cndmask_b32 v5, v79, v13, vcc_lo :: v_dual_cndmask_b32 v6, v6, v10, s8
	v_cndmask_b32_e32 v10, v76, v12, vcc_lo
	s_delay_alu instid0(VALU_DEP_2) | instskip(NEXT) | instid1(VALU_DEP_3)
	v_bfe_u32 v12, v5, 29, 1
	v_cndmask_b32_e64 v6, v78, v6, s9
	s_delay_alu instid0(VALU_DEP_3) | instskip(NEXT) | instid1(VALU_DEP_3)
	v_alignbit_b32 v13, v5, v10, 30
	v_sub_nc_u32_e32 v76, 0, v12
	s_delay_alu instid0(VALU_DEP_3) | instskip(NEXT) | instid1(VALU_DEP_2)
	v_alignbit_b32 v77, v11, v6, v77
	v_xor_b32_e32 v13, v13, v76
	s_delay_alu instid0(VALU_DEP_2) | instskip(NEXT) | instid1(VALU_DEP_2)
	v_cndmask_b32_e32 v11, v77, v11, vcc_lo
	v_clz_i32_u32_e32 v77, v13
	s_delay_alu instid0(VALU_DEP_2) | instskip(NEXT) | instid1(VALU_DEP_2)
	v_alignbit_b32 v10, v10, v11, 30
	v_min_u32_e32 v77, 32, v77
	s_delay_alu instid0(VALU_DEP_2) | instskip(SKIP_1) | instid1(VALU_DEP_3)
	v_xor_b32_e32 v10, v10, v76
	v_alignbit_b32 v6, v11, v6, 30
	v_dual_sub_nc_u32 v11, 31, v77 :: v_dual_lshlrev_b32 v78, 23, v77
	s_delay_alu instid0(VALU_DEP_2) | instskip(SKIP_1) | instid1(VALU_DEP_3)
	v_dual_lshrrev_b32 v76, 29, v5 :: v_dual_bitop2_b32 v6, v6, v76 bitop3:0x14
	v_lshrrev_b32_e32 v5, 30, v5
	v_alignbit_b32 v13, v13, v10, v11
	s_delay_alu instid0(VALU_DEP_3) | instskip(NEXT) | instid1(VALU_DEP_3)
	v_alignbit_b32 v6, v10, v6, v11
	v_dual_lshlrev_b32 v10, 31, v76 :: v_dual_add_nc_u32 v110, v12, v5
	s_delay_alu instid0(VALU_DEP_2) | instskip(NEXT) | instid1(VALU_DEP_2)
	v_alignbit_b32 v11, v13, v6, 9
	v_dual_lshrrev_b32 v13, 9, v13 :: v_dual_bitop2_b32 v76, 0.5, v10 bitop3:0x54
	v_or_b32_e32 v10, 0x33000000, v10
	s_delay_alu instid0(VALU_DEP_3) | instskip(NEXT) | instid1(VALU_DEP_3)
	v_clz_i32_u32_e32 v79, v11
	v_sub_nc_u32_e32 v76, v76, v78
	s_delay_alu instid0(VALU_DEP_2) | instskip(NEXT) | instid1(VALU_DEP_1)
	v_min_u32_e32 v78, 32, v79
	v_add_lshl_u32 v77, v78, v77, 23
	s_delay_alu instid0(VALU_DEP_3) | instskip(SKIP_1) | instid1(VALU_DEP_3)
	v_or_b32_e32 v13, v13, v76
	v_not_b32_e32 v76, v78
	v_sub_nc_u32_e32 v10, v10, v77
	s_delay_alu instid0(VALU_DEP_3) | instskip(NEXT) | instid1(VALU_DEP_3)
	v_mul_f32_e32 v79, 0x3fc90fda, v13
	v_alignbit_b32 v6, v11, v6, v76
	s_delay_alu instid0(VALU_DEP_2) | instskip(NEXT) | instid1(VALU_DEP_1)
	v_fma_f32 v11, 0x3fc90fda, v13, -v79
	v_dual_fmac_f32 v11, 0x33a22168, v13 :: v_dual_lshrrev_b32 v6, 9, v6
	s_delay_alu instid0(VALU_DEP_1) | instskip(NEXT) | instid1(VALU_DEP_1)
	v_or_b32_e32 v6, v10, v6
	v_fmac_f32_e32 v11, 0x3fc90fda, v6
	s_delay_alu instid0(VALU_DEP_1)
	v_add_f32_e32 v109, v79, v11
	s_and_not1_saveexec_b32 s8, s19
	s_branch .LBB0_69
.LBB0_68:                               ;   in Loop: Header=BB0_28 Depth=1
	s_and_not1_saveexec_b32 s8, s19
.LBB0_69:                               ;   in Loop: Header=BB0_28 Depth=1
	v_fma_f32 v109, 0xbfc90fda, v69, |v62|
	v_cvt_i32_f32_e32 v110, v69
	s_delay_alu instid0(VALU_DEP_2) | instskip(NEXT) | instid1(VALU_DEP_1)
	v_fmac_f32_e32 v109, 0xb3a22168, v69
	v_fmac_f32_e32 v109, 0xa7c234c4, v69
; %bb.70:                               ;   in Loop: Header=BB0_28 Depth=1
	s_or_b32 exec_lo, exec_lo, s8
                                        ; implicit-def: $vgpr112
                                        ; implicit-def: $vgpr111
	s_and_saveexec_b32 s8, s18
	s_delay_alu instid0(SALU_CYCLE_1)
	s_xor_b32 s18, exec_lo, s8
	s_cbranch_execz .LBB0_72
; %bb.71:                               ;   in Loop: Header=BB0_28 Depth=1
	v_mul_u64_e32 v[10:11], s[34:35], v[74:75]
	v_mov_b32_e32 v13, v75
	v_cmp_lt_u32_e32 vcc_lo, 63, v66
	v_mov_b32_e32 v117, v75
	v_cndmask_b32_e64 v5, 0, 0xffffffc0, vcc_lo
	s_delay_alu instid0(VALU_DEP_1) | instskip(NEXT) | instid1(VALU_DEP_1)
	v_add_nc_u32_e32 v5, v5, v66
	v_cmp_lt_u32_e64 s8, 31, v5
	s_delay_alu instid0(VALU_DEP_1) | instskip(NEXT) | instid1(VALU_DEP_1)
	v_cndmask_b32_e64 v6, 0, 0xffffffe0, s8
	v_dual_mov_b32 v12, v11 :: v_dual_add_nc_u32 v5, v6, v5
	s_delay_alu instid0(VALU_DEP_1) | instskip(NEXT) | instid1(VALU_DEP_2)
	v_cmp_lt_u32_e64 s9, 31, v5
	v_mad_nc_u64_u32 v[12:13], 0x3c439041, v74, v[12:13]
	v_mov_b32_e32 v77, v75
	s_delay_alu instid0(VALU_DEP_3) | instskip(NEXT) | instid1(VALU_DEP_3)
	v_cndmask_b32_e64 v6, 0, 0xffffffe0, s9
	v_mov_b32_e32 v76, v13
	s_delay_alu instid0(VALU_DEP_1) | instskip(NEXT) | instid1(VALU_DEP_1)
	v_mad_nc_u64_u32 v[76:77], 0xdb629599, v74, v[76:77]
	v_dual_mov_b32 v79, v75 :: v_dual_mov_b32 v78, v77
	s_delay_alu instid0(VALU_DEP_1) | instskip(NEXT) | instid1(VALU_DEP_1)
	v_mad_nc_u64_u32 v[78:79], 0xf534ddc0, v74, v[78:79]
	v_dual_mov_b32 v113, v75 :: v_dual_mov_b32 v112, v79
	;; [unrolled: 3-line block ×3, first 2 shown]
	s_delay_alu instid0(VALU_DEP_2) | instskip(NEXT) | instid1(VALU_DEP_2)
	v_cndmask_b32_e32 v69, v112, v76, vcc_lo
	v_mad_nc_u64_u32 v[114:115], 0x4e441529, v74, v[114:115]
	s_delay_alu instid0(VALU_DEP_1) | instskip(NEXT) | instid1(VALU_DEP_1)
	v_mov_b32_e32 v116, v115
	v_mad_nc_u64_u32 v[116:117], 0xa2f9836e, v74, v[116:117]
	s_delay_alu instid0(VALU_DEP_1) | instskip(NEXT) | instid1(VALU_DEP_2)
	v_dual_cndmask_b32 v11, v114, v78, vcc_lo :: v_dual_cndmask_b32 v13, v116, v112, vcc_lo
	v_dual_cndmask_b32 v66, v117, v114 :: v_dual_add_nc_u32 v5, v6, v5
	s_delay_alu instid0(VALU_DEP_2) | instskip(NEXT) | instid1(VALU_DEP_2)
	v_dual_cndmask_b32 v6, v78, v12, vcc_lo :: v_dual_cndmask_b32 v12, v13, v11, s8
	v_cndmask_b32_e64 v13, v66, v13, s8
	s_delay_alu instid0(VALU_DEP_2) | instskip(NEXT) | instid1(VALU_DEP_2)
	v_dual_cndmask_b32 v11, v11, v69, s8 :: v_dual_cndmask_b32 v69, v69, v6, s8
	v_dual_sub_nc_u32 v66, 32, v5 :: v_dual_cndmask_b32 v13, v13, v12, s9
	s_delay_alu instid0(VALU_DEP_2) | instskip(NEXT) | instid1(VALU_DEP_1)
	v_dual_cndmask_b32 v12, v12, v11, s9 :: v_dual_cndmask_b32 v11, v11, v69, s9
	v_alignbit_b32 v74, v13, v12, v66
	v_cndmask_b32_e32 v10, v76, v10, vcc_lo
	v_cmp_eq_u32_e32 vcc_lo, 0, v5
	s_delay_alu instid0(VALU_DEP_4) | instskip(NEXT) | instid1(VALU_DEP_4)
	v_alignbit_b32 v76, v12, v11, v66
	v_cndmask_b32_e32 v5, v74, v13, vcc_lo
	s_delay_alu instid0(VALU_DEP_2) | instskip(NEXT) | instid1(VALU_DEP_2)
	v_dual_cndmask_b32 v6, v6, v10, s8 :: v_dual_cndmask_b32 v10, v76, v12, vcc_lo
	v_bfe_u32 v12, v5, 29, 1
	s_delay_alu instid0(VALU_DEP_2) | instskip(NEXT) | instid1(VALU_DEP_3)
	v_cndmask_b32_e64 v6, v69, v6, s9
	v_alignbit_b32 v13, v5, v10, 30
	s_delay_alu instid0(VALU_DEP_3) | instskip(NEXT) | instid1(VALU_DEP_3)
	v_sub_nc_u32_e32 v69, 0, v12
	v_alignbit_b32 v66, v11, v6, v66
	s_delay_alu instid0(VALU_DEP_1) | instskip(NEXT) | instid1(VALU_DEP_1)
	v_dual_cndmask_b32 v11, v66, v11, vcc_lo :: v_dual_bitop2_b32 v13, v13, v69 bitop3:0x14
	v_clz_i32_u32_e32 v66, v13
	s_delay_alu instid0(VALU_DEP_2) | instskip(SKIP_1) | instid1(VALU_DEP_3)
	v_alignbit_b32 v10, v10, v11, 30
	v_alignbit_b32 v6, v11, v6, 30
	v_min_u32_e32 v66, 32, v66
	s_delay_alu instid0(VALU_DEP_3) | instskip(NEXT) | instid1(VALU_DEP_3)
	v_xor_b32_e32 v10, v10, v69
	v_xor_b32_e32 v6, v6, v69
	v_dual_lshrrev_b32 v69, 29, v5 :: v_dual_lshrrev_b32 v5, 30, v5
	s_delay_alu instid0(VALU_DEP_4) | instskip(NEXT) | instid1(VALU_DEP_2)
	v_dual_sub_nc_u32 v11, 31, v66 :: v_dual_lshlrev_b32 v74, 23, v66
	v_add_nc_u32_e32 v112, v12, v5
	s_delay_alu instid0(VALU_DEP_2) | instskip(SKIP_2) | instid1(VALU_DEP_2)
	v_alignbit_b32 v13, v13, v10, v11
	v_alignbit_b32 v6, v10, v6, v11
	v_lshlrev_b32_e32 v10, 31, v69
	v_alignbit_b32 v11, v13, v6, 9
	s_delay_alu instid0(VALU_DEP_2) | instskip(SKIP_1) | instid1(VALU_DEP_3)
	v_dual_lshrrev_b32 v13, 9, v13 :: v_dual_bitop2_b32 v69, 0.5, v10 bitop3:0x54
	v_or_b32_e32 v10, 0x33000000, v10
	v_clz_i32_u32_e32 v76, v11
	s_delay_alu instid0(VALU_DEP_3) | instskip(NEXT) | instid1(VALU_DEP_2)
	v_sub_nc_u32_e32 v69, v69, v74
	v_min_u32_e32 v74, 32, v76
	s_delay_alu instid0(VALU_DEP_1) | instskip(NEXT) | instid1(VALU_DEP_3)
	v_add_lshl_u32 v66, v74, v66, 23
	v_or_b32_e32 v13, v13, v69
	v_not_b32_e32 v69, v74
	s_delay_alu instid0(VALU_DEP_3) | instskip(NEXT) | instid1(VALU_DEP_3)
	v_sub_nc_u32_e32 v10, v10, v66
	v_mul_f32_e32 v76, 0x3fc90fda, v13
	s_delay_alu instid0(VALU_DEP_3) | instskip(NEXT) | instid1(VALU_DEP_2)
	v_alignbit_b32 v6, v11, v6, v69
                                        ; implicit-def: $vgpr69
	v_fma_f32 v11, 0x3fc90fda, v13, -v76
	s_delay_alu instid0(VALU_DEP_1) | instskip(NEXT) | instid1(VALU_DEP_1)
	v_dual_fmac_f32 v11, 0x33a22168, v13 :: v_dual_lshrrev_b32 v6, 9, v6
	v_or_b32_e32 v6, v10, v6
	s_delay_alu instid0(VALU_DEP_1) | instskip(NEXT) | instid1(VALU_DEP_1)
	v_fmac_f32_e32 v11, 0x3fc90fda, v6
	v_add_f32_e32 v111, v76, v11
	s_and_not1_saveexec_b32 s8, s18
	s_cbranch_execnz .LBB0_73
	s_branch .LBB0_74
.LBB0_72:                               ;   in Loop: Header=BB0_28 Depth=1
	s_and_not1_saveexec_b32 s8, s18
.LBB0_73:                               ;   in Loop: Header=BB0_28 Depth=1
	v_fma_f32 v111, 0xbfc90fda, v69, |v62|
	v_cvt_i32_f32_e32 v112, v69
	s_delay_alu instid0(VALU_DEP_2) | instskip(NEXT) | instid1(VALU_DEP_1)
	v_fmac_f32_e32 v111, 0xb3a22168, v69
	v_fmac_f32_e32 v111, 0xa7c234c4, v69
.LBB0_74:                               ;   in Loop: Header=BB0_28 Depth=1
	s_or_b32 exec_lo, exec_lo, s8
	v_dual_mul_f32 v5, v109, v109 :: v_dual_bitop2_b32 v6, 1, v110 bitop3:0x40
	v_dual_mul_f32 v10, v64, v64 :: v_dual_lshlrev_b32 v11, 30, v110
	s_delay_alu instid0(VALU_DEP_2) | instskip(NEXT) | instid1(VALU_DEP_2)
	v_dual_mul_f32 v66, v67, v67 :: v_dual_fmaak_f32 v13, s38, v5, 0xbab64f3b
	v_dual_fmaak_f32 v12, s36, v5, 0x3c0881c4 :: v_dual_fmaak_f32 v69, s36, v10, 0x3c0881c4
	s_delay_alu instid0(VALU_DEP_4) | instskip(SKIP_1) | instid1(VALU_DEP_4)
	v_cmp_eq_u32_e32 vcc_lo, 0, v6
	v_and_b32_e32 v6, 1, v65
	v_dual_fmaak_f32 v13, v5, v13, 0x3d2aabf7 :: v_dual_mul_f32 v76, v111, v111
	s_delay_alu instid0(VALU_DEP_4) | instskip(SKIP_1) | instid1(VALU_DEP_3)
	v_dual_fmaak_f32 v12, v5, v12, 0xbe2aaa9d :: v_dual_fmaak_f32 v69, v10, v69, 0xbe2aaa9d
	v_fmaak_f32 v74, s38, v10, 0xbab64f3b
	v_fmaak_f32 v13, v5, v13, 0xbf000004
	s_delay_alu instid0(VALU_DEP_3) | instskip(NEXT) | instid1(VALU_DEP_3)
	v_dual_mul_f32 v12, v5, v12 :: v_dual_lshlrev_b32 v65, 30, v65
	v_dual_mul_f32 v69, v10, v69 :: v_dual_fmaak_f32 v74, v10, v74, 0x3d2aabf7
	s_delay_alu instid0(VALU_DEP_3) | instskip(SKIP_1) | instid1(VALU_DEP_3)
	v_fma_f32 v5, v5, v13, 1.0
	v_fmaak_f32 v77, s36, v66, 0x3c0881c4
	v_dual_fmac_f32 v109, v109, v12 :: v_dual_fmac_f32 v64, v64, v69
	s_delay_alu instid0(VALU_DEP_4) | instskip(SKIP_1) | instid1(VALU_DEP_4)
	v_fmaak_f32 v74, v10, v74, 0xbf000004
	v_fmaak_f32 v12, s38, v66, 0xbab64f3b
	;; [unrolled: 1-line block ×4, first 2 shown]
	s_delay_alu instid0(VALU_DEP_4) | instskip(SKIP_2) | instid1(VALU_DEP_3)
	v_fma_f32 v10, v10, v74, 1.0
	v_cndmask_b32_e64 v5, -v109, v5, vcc_lo
	v_cmp_eq_u32_e32 vcc_lo, 0, v6
	v_cndmask_b32_e64 v6, -v64, v10, vcc_lo
	s_delay_alu instid0(VALU_DEP_3) | instskip(SKIP_4) | instid1(VALU_DEP_4)
	v_bitop3_b32 v5, v11, v5, 0x80000000 bitop3:0x6c
	v_fmaak_f32 v74, s38, v76, 0xbab64f3b
	v_mul_f32_e32 v10, v66, v13
	v_fmaak_f32 v13, v76, v69, 0xbe2aaa9d
	v_bitop3_b32 v6, v65, v6, 0x80000000 bitop3:0x6c
	v_fmaak_f32 v64, v76, v74, 0x3d2aabf7
	s_delay_alu instid0(VALU_DEP_3) | instskip(NEXT) | instid1(VALU_DEP_2)
	v_dual_fmac_f32 v67, v67, v10 :: v_dual_mul_f32 v10, v76, v13
	v_fmaak_f32 v13, v76, v64, 0xbf000004
	s_delay_alu instid0(VALU_DEP_2) | instskip(NEXT) | instid1(VALU_DEP_2)
	v_dual_fmaak_f32 v12, v66, v12, 0x3d2aabf7 :: v_dual_fmac_f32 v111, v111, v10
	v_fma_f32 v10, v76, v13, 1.0
	s_delay_alu instid0(VALU_DEP_2) | instskip(SKIP_1) | instid1(VALU_DEP_2)
	v_fmaak_f32 v12, v66, v12, 0xbf000004
	v_and_b32_e32 v13, 1, v112
	v_fma_f32 v12, v66, v12, 1.0
	v_dual_lshlrev_b32 v66, 30, v68 :: v_dual_bitop2_b32 v64, 1, v68 bitop3:0x40
	v_lshlrev_b32_e32 v68, 30, v112
	s_delay_alu instid0(VALU_DEP_2) | instskip(NEXT) | instid1(VALU_DEP_3)
	v_cmp_eq_u32_e32 vcc_lo, 0, v64
	v_bitop3_b32 v64, v63, v66, 0x80000000 bitop3:0x78
	v_cndmask_b32_e32 v12, v12, v67, vcc_lo
	v_cmp_eq_u32_e32 vcc_lo, 0, v13
	v_bitop3_b32 v13, v63, v68, 0x80000000 bitop3:0x78
	s_delay_alu instid0(VALU_DEP_3) | instskip(SKIP_2) | instid1(VALU_DEP_2)
	v_xor3_b32 v11, v64, v12, v62
	v_cndmask_b32_e32 v10, v10, v111, vcc_lo
	v_cmp_class_f32_e64 vcc_lo, v62, 0x1f8
	v_xor3_b32 v10, v13, v10, v62
	s_delay_alu instid0(VALU_DEP_1) | instskip(NEXT) | instid1(VALU_DEP_1)
	v_dual_sub_f32 v5, v5, v10 :: v_dual_add_f32 v6, v6, v11
	v_cndmask_b32_e32 v5, 0x7fc00000, v5, vcc_lo
	s_delay_alu instid0(VALU_DEP_2) | instskip(NEXT) | instid1(VALU_DEP_1)
	v_cndmask_b32_e32 v6, 0x7fc00000, v6, vcc_lo
	v_dual_mul_f32 v62, v15, v5 :: v_dual_mul_f32 v63, v15, v6
.LBB0_75:                               ;   in Loop: Header=BB0_28 Depth=1
	s_and_not1_saveexec_b32 s17, s17
	s_cbranch_execz .LBB0_81
; %bb.76:                               ;   in Loop: Header=BB0_28 Depth=1
	global_load_b32 v5, v[118:119], off
                                        ; implicit-def: $vgpr64
                                        ; implicit-def: $vgpr6
	s_mov_b32 s9, exec_lo
	s_wait_loadcnt 0x0
	v_mul_f32_e32 v5, 0x40490fdb, v5
	s_delay_alu instid0(VALU_DEP_1) | instskip(NEXT) | instid1(VALU_DEP_1)
	v_mul_f32_e32 v62, v18, v5
	v_and_b32_e32 v63, 0x7fffffff, v62
	s_wait_xcnt 0x0
	v_cmpx_ngt_f32_e64 0x48000000, |v62|
	s_xor_b32 s18, exec_lo, s9
	s_cbranch_execz .LBB0_78
; %bb.77:                               ;   in Loop: Header=BB0_28 Depth=1
	v_and_or_b32 v74, v63, s33, 0x800000
	v_dual_lshrrev_b32 v5, 23, v63 :: v_dual_mov_b32 v77, v75
	v_mov_b32_e32 v79, v75
	s_delay_alu instid0(VALU_DEP_3) | instskip(SKIP_1) | instid1(VALU_DEP_4)
	v_mul_u64_e32 v[10:11], s[34:35], v[74:75]
	v_mov_b32_e32 v13, v75
	v_add_nc_u32_e32 v5, 0xffffff88, v5
	s_delay_alu instid0(VALU_DEP_1) | instskip(SKIP_1) | instid1(VALU_DEP_1)
	v_cmp_lt_u32_e32 vcc_lo, 63, v5
	v_cndmask_b32_e64 v6, 0, 0xffffffc0, vcc_lo
	v_add_nc_u32_e32 v5, v6, v5
	s_delay_alu instid0(VALU_DEP_1) | instskip(NEXT) | instid1(VALU_DEP_1)
	v_cmp_lt_u32_e64 s8, 31, v5
	v_cndmask_b32_e64 v6, 0, 0xffffffe0, s8
	s_delay_alu instid0(VALU_DEP_1) | instskip(NEXT) | instid1(VALU_DEP_1)
	v_dual_mov_b32 v12, v11 :: v_dual_add_nc_u32 v5, v6, v5
	v_mad_nc_u64_u32 v[12:13], 0x3c439041, v74, v[12:13]
	v_mov_b32_e32 v65, v75
	s_delay_alu instid0(VALU_DEP_3) | instskip(NEXT) | instid1(VALU_DEP_1)
	v_cmp_lt_u32_e64 s9, 31, v5
	v_cndmask_b32_e64 v6, 0, 0xffffffe0, s9
	s_delay_alu instid0(VALU_DEP_1) | instskip(NEXT) | instid1(VALU_DEP_1)
	v_dual_mov_b32 v64, v13 :: v_dual_add_nc_u32 v5, v6, v5
	v_mad_nc_u64_u32 v[64:65], 0xdb629599, v74, v[64:65]
	s_delay_alu instid0(VALU_DEP_1) | instskip(NEXT) | instid1(VALU_DEP_1)
	v_dual_mov_b32 v67, v75 :: v_dual_mov_b32 v66, v65
	v_mad_nc_u64_u32 v[66:67], 0xf534ddc0, v74, v[66:67]
	s_delay_alu instid0(VALU_DEP_1) | instskip(NEXT) | instid1(VALU_DEP_1)
	v_dual_mov_b32 v69, v75 :: v_dual_mov_b32 v68, v67
	v_mad_nc_u64_u32 v[68:69], 0xfc2757d1, v74, v[68:69]
	s_delay_alu instid0(VALU_DEP_1) | instskip(NEXT) | instid1(VALU_DEP_1)
	v_mov_b32_e32 v76, v69
	v_mad_nc_u64_u32 v[76:77], 0x4e441529, v74, v[76:77]
	s_delay_alu instid0(VALU_DEP_1) | instskip(NEXT) | instid1(VALU_DEP_1)
	v_mov_b32_e32 v78, v77
	v_mad_nc_u64_u32 v[78:79], 0xa2f9836e, v74, v[78:79]
	s_delay_alu instid0(VALU_DEP_1) | instskip(NEXT) | instid1(VALU_DEP_2)
	v_dual_cndmask_b32 v11, v76, v66, vcc_lo :: v_dual_cndmask_b32 v13, v78, v68, vcc_lo
	v_cndmask_b32_e32 v65, v79, v76, vcc_lo
	v_cndmask_b32_e32 v67, v68, v64, vcc_lo
	s_delay_alu instid0(VALU_DEP_3) | instskip(NEXT) | instid1(VALU_DEP_2)
	v_dual_cndmask_b32 v6, v66, v12, vcc_lo :: v_dual_cndmask_b32 v12, v13, v11, s8
	v_dual_cndmask_b32 v13, v65, v13, s8 :: v_dual_cndmask_b32 v11, v11, v67, s8
	s_delay_alu instid0(VALU_DEP_2) | instskip(NEXT) | instid1(VALU_DEP_2)
	v_dual_sub_nc_u32 v65, 32, v5 :: v_dual_cndmask_b32 v66, v67, v6, s8
	v_dual_cndmask_b32 v13, v13, v12, s9 :: v_dual_cndmask_b32 v12, v12, v11, s9
	s_delay_alu instid0(VALU_DEP_2) | instskip(NEXT) | instid1(VALU_DEP_2)
	v_cndmask_b32_e64 v11, v11, v66, s9
	v_alignbit_b32 v67, v13, v12, v65
	v_cndmask_b32_e32 v10, v64, v10, vcc_lo
	v_cmp_eq_u32_e32 vcc_lo, 0, v5
	s_delay_alu instid0(VALU_DEP_4) | instskip(NEXT) | instid1(VALU_DEP_3)
	v_alignbit_b32 v64, v12, v11, v65
	v_dual_cndmask_b32 v5, v67, v13, vcc_lo :: v_dual_cndmask_b32 v6, v6, v10, s8
	s_delay_alu instid0(VALU_DEP_2) | instskip(NEXT) | instid1(VALU_DEP_2)
	v_cndmask_b32_e32 v10, v64, v12, vcc_lo
	v_bfe_u32 v12, v5, 29, 1
	s_delay_alu instid0(VALU_DEP_3) | instskip(NEXT) | instid1(VALU_DEP_3)
	v_cndmask_b32_e64 v6, v66, v6, s9
	v_alignbit_b32 v13, v5, v10, 30
	s_delay_alu instid0(VALU_DEP_3) | instskip(NEXT) | instid1(VALU_DEP_3)
	v_sub_nc_u32_e32 v64, 0, v12
	v_alignbit_b32 v65, v11, v6, v65
	s_delay_alu instid0(VALU_DEP_2) | instskip(NEXT) | instid1(VALU_DEP_2)
	v_xor_b32_e32 v13, v13, v64
	v_cndmask_b32_e32 v11, v65, v11, vcc_lo
	s_delay_alu instid0(VALU_DEP_2) | instskip(NEXT) | instid1(VALU_DEP_2)
	v_clz_i32_u32_e32 v65, v13
	v_alignbit_b32 v10, v10, v11, 30
	s_delay_alu instid0(VALU_DEP_2) | instskip(NEXT) | instid1(VALU_DEP_2)
	v_min_u32_e32 v65, 32, v65
	v_xor_b32_e32 v10, v10, v64
	v_alignbit_b32 v6, v11, v6, 30
	s_delay_alu instid0(VALU_DEP_3) | instskip(NEXT) | instid1(VALU_DEP_2)
	v_dual_sub_nc_u32 v11, 31, v65 :: v_dual_lshlrev_b32 v66, 23, v65
	v_dual_lshrrev_b32 v64, 29, v5 :: v_dual_bitop2_b32 v6, v6, v64 bitop3:0x14
	v_lshrrev_b32_e32 v5, 30, v5
	s_delay_alu instid0(VALU_DEP_3) | instskip(NEXT) | instid1(VALU_DEP_3)
	v_alignbit_b32 v13, v13, v10, v11
	v_alignbit_b32 v6, v10, v6, v11
	s_delay_alu instid0(VALU_DEP_4) | instskip(NEXT) | instid1(VALU_DEP_2)
	v_lshlrev_b32_e32 v10, 31, v64
	v_alignbit_b32 v11, v13, v6, 9
	s_delay_alu instid0(VALU_DEP_2) | instskip(SKIP_1) | instid1(VALU_DEP_3)
	v_dual_lshrrev_b32 v13, 9, v13 :: v_dual_bitop2_b32 v64, 0.5, v10 bitop3:0x54
	v_or_b32_e32 v10, 0x33000000, v10
	v_clz_i32_u32_e32 v67, v11
	s_delay_alu instid0(VALU_DEP_3) | instskip(NEXT) | instid1(VALU_DEP_2)
	v_sub_nc_u32_e32 v64, v64, v66
	v_min_u32_e32 v66, 32, v67
	s_delay_alu instid0(VALU_DEP_1) | instskip(NEXT) | instid1(VALU_DEP_3)
	v_add_lshl_u32 v65, v66, v65, 23
	v_or_b32_e32 v13, v13, v64
	v_not_b32_e32 v64, v66
	s_delay_alu instid0(VALU_DEP_3) | instskip(NEXT) | instid1(VALU_DEP_3)
	v_sub_nc_u32_e32 v10, v10, v65
	v_mul_f32_e32 v67, 0x3fc90fda, v13
	s_delay_alu instid0(VALU_DEP_3) | instskip(SKIP_1) | instid1(VALU_DEP_3)
	v_alignbit_b32 v6, v11, v6, v64
	v_add_nc_u32_e32 v64, v12, v5
	v_fma_f32 v11, 0x3fc90fda, v13, -v67
	s_delay_alu instid0(VALU_DEP_1) | instskip(NEXT) | instid1(VALU_DEP_1)
	v_dual_fmac_f32 v11, 0x33a22168, v13 :: v_dual_lshrrev_b32 v6, 9, v6
	v_or_b32_e32 v6, v10, v6
	s_delay_alu instid0(VALU_DEP_1) | instskip(NEXT) | instid1(VALU_DEP_1)
	v_fmac_f32_e32 v11, 0x3fc90fda, v6
	v_add_f32_e32 v6, v67, v11
.LBB0_78:                               ;   in Loop: Header=BB0_28 Depth=1
	s_and_not1_saveexec_b32 s8, s18
; %bb.79:                               ;   in Loop: Header=BB0_28 Depth=1
	v_mul_f32_e64 v5, 0x3f22f983, |v62|
	s_delay_alu instid0(VALU_DEP_1) | instskip(NEXT) | instid1(VALU_DEP_1)
	v_rndne_f32_e32 v5, v5
	v_fma_f32 v6, 0xbfc90fda, v5, |v62|
	v_cvt_i32_f32_e32 v64, v5
	s_delay_alu instid0(VALU_DEP_2) | instskip(NEXT) | instid1(VALU_DEP_1)
	v_fmac_f32_e32 v6, 0xb3a22168, v5
	v_fmac_f32_e32 v6, 0xa7c234c4, v5
; %bb.80:                               ;   in Loop: Header=BB0_28 Depth=1
	s_or_b32 exec_lo, exec_lo, s8
	s_delay_alu instid0(VALU_DEP_1) | instskip(NEXT) | instid1(VALU_DEP_1)
	v_mul_f32_e32 v5, v6, v6
	v_fmaak_f32 v10, s23, v5, 0xbf039337
	v_fmaak_f32 v11, s40, v5, 0x3ec54587
	s_delay_alu instid0(VALU_DEP_2) | instskip(NEXT) | instid1(VALU_DEP_1)
	v_fmaak_f32 v10, v5, v10, 0x3f93f425
	v_rcp_f32_e32 v10, v10
	v_nop
	s_delay_alu instid0(TRANS32_DEP_1) | instskip(NEXT) | instid1(VALU_DEP_1)
	v_mul_f32_e32 v10, v11, v10
	v_mul_f32_e32 v5, v5, v10
	s_delay_alu instid0(VALU_DEP_1) | instskip(NEXT) | instid1(VALU_DEP_1)
	v_fma_f32 v10, v5, v6, v6
	v_sub_f32_e32 v12, v10, v6
	s_delay_alu instid0(VALU_DEP_1) | instskip(SKIP_2) | instid1(TRANS32_DEP_1)
	v_fma_f32 v5, v5, v6, -v12
	v_rcp_f32_e32 v11, v10
	v_nop
	v_fma_f32 v6, v10, -v11, 1.0
	s_delay_alu instid0(VALU_DEP_1) | instskip(NEXT) | instid1(VALU_DEP_1)
	v_dual_fma_f32 v5, v5, -v11, v6 :: v_dual_bitop2_b32 v6, 1, v64 bitop3:0x40
	v_fma_f32 v5, v5, -v11, -v11
	s_delay_alu instid0(VALU_DEP_2) | instskip(NEXT) | instid1(VALU_DEP_2)
	v_cmp_eq_u32_e32 vcc_lo, 0, v6
	v_cndmask_b32_e32 v5, v5, v10, vcc_lo
	v_cmp_class_f32_e64 vcc_lo, v62, 0x1f8
	s_delay_alu instid0(VALU_DEP_2) | instskip(NEXT) | instid1(VALU_DEP_1)
	v_xor3_b32 v5, v63, v62, v5
	v_cndmask_b32_e32 v5, 0x7fc00000, v5, vcc_lo
	s_delay_alu instid0(VALU_DEP_1) | instskip(NEXT) | instid1(VALU_DEP_1)
	v_mul_f32_e32 v5, v18, v5
	v_div_scale_f32 v6, null, v80, v80, v5
	s_delay_alu instid0(VALU_DEP_1) | instskip(SKIP_1) | instid1(TRANS32_DEP_1)
	v_rcp_f32_e32 v10, v6
	v_nop
	v_fma_f32 v11, -v6, v10, 1.0
	s_delay_alu instid0(VALU_DEP_1) | instskip(SKIP_1) | instid1(VALU_DEP_1)
	v_fmac_f32_e32 v10, v11, v10
	v_div_scale_f32 v11, vcc_lo, v5, v80, v5
	v_mul_f32_e32 v12, v11, v10
	s_delay_alu instid0(VALU_DEP_1) | instskip(NEXT) | instid1(VALU_DEP_1)
	v_fma_f32 v13, -v6, v12, v11
	v_fmac_f32_e32 v12, v13, v10
	s_delay_alu instid0(VALU_DEP_1) | instskip(NEXT) | instid1(VALU_DEP_1)
	v_fma_f32 v6, -v6, v12, v11
	v_div_fmas_f32 v6, v6, v10, v12
	s_delay_alu instid0(VALU_DEP_1) | instskip(NEXT) | instid1(VALU_DEP_1)
	v_div_fixup_f32 v6, v6, v80, v5
	v_pk_mul_f32 v[62:63], v[32:33], v[6:7] op_sel_hi:[1,0]
.LBB0_81:                               ;   in Loop: Header=BB0_28 Depth=1
	s_or_b32 exec_lo, exec_lo, s17
.LBB0_82:                               ;   in Loop: Header=BB0_28 Depth=1
	s_delay_alu instid0(SALU_CYCLE_1)
	s_or_b32 exec_lo, exec_lo, s16
                                        ; implicit-def: $vgpr6
.LBB0_83:                               ;   in Loop: Header=BB0_28 Depth=1
	s_and_not1_saveexec_b32 s15, s15
	s_cbranch_execz .LBB0_115
; %bb.84:                               ;   in Loop: Header=BB0_28 Depth=1
	s_mov_b32 s8, exec_lo
	v_cmpx_lt_i32_e32 41, v6
	s_xor_b32 s8, exec_lo, s8
	s_cbranch_execz .LBB0_90
; %bb.85:                               ;   in Loop: Header=BB0_28 Depth=1
	s_mov_b32 s9, exec_lo
                                        ; implicit-def: $vgpr63
	v_cmpx_lt_i32_e32 42, v6
	s_xor_b32 s9, exec_lo, s9
	s_cbranch_execz .LBB0_87
; %bb.86:                               ;   in Loop: Header=BB0_28 Depth=1
	global_load_b32 v11, v[118:119], off
	scratch_load_b64 v[12:13], off, off offset:16 ; 8-byte Folded Reload
	s_wait_loadcnt 0x0
	global_load_b32 v10, v[12:13], off
	s_wait_loadcnt 0x0
	v_pk_add_f32 v[62:63], v[10:11], -0.5 op_sel_hi:[1,0]
.LBB0_87:                               ;   in Loop: Header=BB0_28 Depth=1
	s_wait_xcnt 0x0
	s_and_not1_saveexec_b32 s9, s9
	s_cbranch_execz .LBB0_89
; %bb.88:                               ;   in Loop: Header=BB0_28 Depth=1
	s_wait_loadcnt 0x0
	v_dual_mov_b32 v63, v83 :: v_dual_mov_b32 v62, v84
.LBB0_89:                               ;   in Loop: Header=BB0_28 Depth=1
	s_or_b32 exec_lo, exec_lo, s9
                                        ; implicit-def: $vgpr6
.LBB0_90:                               ;   in Loop: Header=BB0_28 Depth=1
	s_and_not1_saveexec_b32 s16, s8
	s_cbranch_execz .LBB0_114
; %bb.91:                               ;   in Loop: Header=BB0_28 Depth=1
	s_mov_b32 s8, exec_lo
	v_cmpx_lt_i32_e32 40, v6
	s_xor_b32 s17, exec_lo, s8
	s_cbranch_execz .LBB0_101
; %bb.92:                               ;   in Loop: Header=BB0_28 Depth=1
	global_load_b32 v5, v[118:119], off
                                        ; implicit-def: $vgpr65
                                        ; implicit-def: $vgpr64
	s_wait_loadcnt 0x0
	v_mul_f32_e32 v5, 0x40490fdb, v5
	s_delay_alu instid0(VALU_DEP_1) | instskip(NEXT) | instid1(VALU_DEP_1)
	v_mul_f32_e32 v62, v18, v5
	v_and_b32_e32 v63, 0x7fffffff, v62
	s_delay_alu instid0(VALU_DEP_1) | instskip(SKIP_2) | instid1(VALU_DEP_3)
	v_lshrrev_b32_e32 v5, 23, v63
	v_cmp_ngt_f32_e64 s18, 0x48000000, |v62|
	v_and_or_b32 v74, v63, s33, 0x800000
	v_add_nc_u32_e32 v66, 0xffffff88, v5
	s_wait_xcnt 0x0
	s_and_saveexec_b32 s8, s18
	s_delay_alu instid0(SALU_CYCLE_1)
	s_xor_b32 s19, exec_lo, s8
	s_cbranch_execz .LBB0_94
; %bb.93:                               ;   in Loop: Header=BB0_28 Depth=1
	v_mul_u64_e32 v[10:11], s[34:35], v[74:75]
	v_mov_b32_e32 v13, v75
	v_cmp_lt_u32_e32 vcc_lo, 63, v66
	v_mov_b32_e32 v111, v75
	v_cndmask_b32_e64 v5, 0, 0xffffffc0, vcc_lo
	s_delay_alu instid0(VALU_DEP_1) | instskip(NEXT) | instid1(VALU_DEP_1)
	v_add_nc_u32_e32 v5, v5, v66
	v_cmp_lt_u32_e64 s8, 31, v5
	s_delay_alu instid0(VALU_DEP_1) | instskip(NEXT) | instid1(VALU_DEP_1)
	v_cndmask_b32_e64 v6, 0, 0xffffffe0, s8
	v_dual_mov_b32 v12, v11 :: v_dual_add_nc_u32 v5, v6, v5
	s_delay_alu instid0(VALU_DEP_1) | instskip(NEXT) | instid1(VALU_DEP_2)
	v_cmp_lt_u32_e64 s9, 31, v5
	v_mad_nc_u64_u32 v[12:13], 0x3c439041, v74, v[12:13]
	v_mov_b32_e32 v65, v75
	s_delay_alu instid0(VALU_DEP_3) | instskip(NEXT) | instid1(VALU_DEP_1)
	v_cndmask_b32_e64 v6, 0, 0xffffffe0, s9
	v_dual_mov_b32 v64, v13 :: v_dual_add_nc_u32 v5, v6, v5
	s_delay_alu instid0(VALU_DEP_1) | instskip(NEXT) | instid1(VALU_DEP_1)
	v_mad_nc_u64_u32 v[64:65], 0xdb629599, v74, v[64:65]
	v_dual_mov_b32 v69, v75 :: v_dual_mov_b32 v68, v65
	s_delay_alu instid0(VALU_DEP_2) | instskip(NEXT) | instid1(VALU_DEP_2)
	v_cndmask_b32_e32 v10, v64, v10, vcc_lo
	v_mad_nc_u64_u32 v[68:69], 0xf534ddc0, v74, v[68:69]
	s_delay_alu instid0(VALU_DEP_1) | instskip(NEXT) | instid1(VALU_DEP_1)
	v_dual_mov_b32 v77, v75 :: v_dual_mov_b32 v76, v69
	v_mad_nc_u64_u32 v[76:77], 0xfc2757d1, v74, v[76:77]
	s_delay_alu instid0(VALU_DEP_1) | instskip(NEXT) | instid1(VALU_DEP_2)
	v_dual_mov_b32 v79, v75 :: v_dual_mov_b32 v78, v77
	v_cndmask_b32_e32 v67, v76, v64, vcc_lo
	s_delay_alu instid0(VALU_DEP_2) | instskip(NEXT) | instid1(VALU_DEP_1)
	v_mad_nc_u64_u32 v[78:79], 0x4e441529, v74, v[78:79]
	v_mov_b32_e32 v110, v79
	s_delay_alu instid0(VALU_DEP_1) | instskip(NEXT) | instid1(VALU_DEP_1)
	v_mad_nc_u64_u32 v[110:111], 0xa2f9836e, v74, v[110:111]
	v_dual_cndmask_b32 v11, v78, v68, vcc_lo :: v_dual_cndmask_b32 v65, v111, v78, vcc_lo
	s_delay_alu instid0(VALU_DEP_2) | instskip(SKIP_2) | instid1(VALU_DEP_3)
	v_cndmask_b32_e32 v13, v110, v76, vcc_lo
	v_cndmask_b32_e32 v6, v68, v12, vcc_lo
	v_cmp_eq_u32_e32 vcc_lo, 0, v5
	v_cndmask_b32_e64 v12, v13, v11, s8
	v_dual_cndmask_b32 v11, v11, v67, s8 :: v_dual_cndmask_b32 v13, v65, v13, s8
	s_delay_alu instid0(VALU_DEP_4) | instskip(NEXT) | instid1(VALU_DEP_2)
	v_dual_cndmask_b32 v67, v67, v6, s8 :: v_dual_sub_nc_u32 v65, 32, v5
	v_dual_cndmask_b32 v6, v6, v10, s8 :: v_dual_cndmask_b32 v13, v13, v12, s9
	s_delay_alu instid0(VALU_DEP_1) | instskip(NEXT) | instid1(VALU_DEP_1)
	v_dual_cndmask_b32 v12, v12, v11, s9 :: v_dual_cndmask_b32 v6, v67, v6, s9
	v_alignbit_b32 v68, v13, v12, v65
	s_delay_alu instid0(VALU_DEP_1) | instskip(NEXT) | instid1(VALU_DEP_1)
	v_dual_cndmask_b32 v11, v11, v67, s9 :: v_dual_cndmask_b32 v5, v68, v13, vcc_lo
	v_alignbit_b32 v64, v12, v11, v65
	s_delay_alu instid0(VALU_DEP_4) | instskip(NEXT) | instid1(VALU_DEP_2)
	v_alignbit_b32 v65, v11, v6, v65
	v_cndmask_b32_e32 v10, v64, v12, vcc_lo
	s_delay_alu instid0(VALU_DEP_4) | instskip(NEXT) | instid1(VALU_DEP_2)
	v_bfe_u32 v12, v5, 29, 1
	v_alignbit_b32 v13, v5, v10, 30
	s_delay_alu instid0(VALU_DEP_2) | instskip(NEXT) | instid1(VALU_DEP_1)
	v_dual_cndmask_b32 v11, v65, v11 :: v_dual_sub_nc_u32 v64, 0, v12
	v_xor_b32_e32 v13, v13, v64
	s_delay_alu instid0(VALU_DEP_2) | instskip(NEXT) | instid1(VALU_DEP_2)
	v_alignbit_b32 v10, v10, v11, 30
	v_clz_i32_u32_e32 v65, v13
	s_delay_alu instid0(VALU_DEP_2) | instskip(SKIP_1) | instid1(VALU_DEP_3)
	v_xor_b32_e32 v10, v10, v64
	v_alignbit_b32 v6, v11, v6, 30
	v_min_u32_e32 v65, 32, v65
	s_delay_alu instid0(VALU_DEP_2) | instskip(SKIP_1) | instid1(VALU_DEP_3)
	v_dual_lshrrev_b32 v64, 29, v5 :: v_dual_bitop2_b32 v6, v6, v64 bitop3:0x14
	v_lshrrev_b32_e32 v5, 30, v5
	v_dual_sub_nc_u32 v11, 31, v65 :: v_dual_lshlrev_b32 v67, 23, v65
	s_delay_alu instid0(VALU_DEP_1) | instskip(NEXT) | instid1(VALU_DEP_4)
	v_alignbit_b32 v13, v13, v10, v11
	v_alignbit_b32 v6, v10, v6, v11
	v_lshlrev_b32_e32 v10, 31, v64
	s_delay_alu instid0(VALU_DEP_2) | instskip(NEXT) | instid1(VALU_DEP_2)
	v_alignbit_b32 v11, v13, v6, 9
	v_dual_lshrrev_b32 v13, 9, v13 :: v_dual_bitop2_b32 v64, 0.5, v10 bitop3:0x54
	v_or_b32_e32 v10, 0x33000000, v10
	s_delay_alu instid0(VALU_DEP_3) | instskip(NEXT) | instid1(VALU_DEP_3)
	v_clz_i32_u32_e32 v68, v11
	v_sub_nc_u32_e32 v64, v64, v67
	s_delay_alu instid0(VALU_DEP_2) | instskip(NEXT) | instid1(VALU_DEP_1)
	v_min_u32_e32 v67, 32, v68
	v_add_lshl_u32 v65, v67, v65, 23
	s_delay_alu instid0(VALU_DEP_1) | instskip(SKIP_2) | instid1(VALU_DEP_2)
	v_dual_sub_nc_u32 v10, v10, v65 :: v_dual_bitop2_b32 v13, v13, v64 bitop3:0x54
	v_not_b32_e32 v64, v67
	v_add_nc_u32_e32 v65, v12, v5
	v_alignbit_b32 v6, v11, v6, v64
	s_delay_alu instid0(VALU_DEP_1) | instskip(NEXT) | instid1(VALU_DEP_1)
	v_lshrrev_b32_e32 v6, 9, v6
	v_or_b32_e32 v6, v10, v6
	v_mul_f32_e32 v68, 0x3fc90fda, v13
	s_delay_alu instid0(VALU_DEP_1) | instskip(NEXT) | instid1(VALU_DEP_1)
	v_fma_f32 v11, 0x3fc90fda, v13, -v68
	v_fmac_f32_e32 v11, 0x33a22168, v13
	s_delay_alu instid0(VALU_DEP_1) | instskip(NEXT) | instid1(VALU_DEP_1)
	v_fmac_f32_e32 v11, 0x3fc90fda, v6
	v_add_f32_e32 v64, v68, v11
.LBB0_94:                               ;   in Loop: Header=BB0_28 Depth=1
	s_or_saveexec_b32 s8, s19
	v_mul_f32_e64 v5, 0x3f22f983, |v62|
	s_delay_alu instid0(VALU_DEP_1)
	v_rndne_f32_e32 v69, v5
	s_xor_b32 exec_lo, exec_lo, s8
; %bb.95:                               ;   in Loop: Header=BB0_28 Depth=1
	s_delay_alu instid0(VALU_DEP_1) | instskip(SKIP_1) | instid1(VALU_DEP_2)
	v_fma_f32 v64, 0xbfc90fda, v69, |v62|
	v_cvt_i32_f32_e32 v65, v69
	v_fmac_f32_e32 v64, 0xb3a22168, v69
	s_delay_alu instid0(VALU_DEP_1)
	v_fmac_f32_e32 v64, 0xa7c234c4, v69
; %bb.96:                               ;   in Loop: Header=BB0_28 Depth=1
	s_or_b32 exec_lo, exec_lo, s8
                                        ; implicit-def: $vgpr68
                                        ; implicit-def: $vgpr67
	s_and_saveexec_b32 s8, s18
	s_delay_alu instid0(SALU_CYCLE_1)
	s_xor_b32 s18, exec_lo, s8
	s_cbranch_execz .LBB0_98
; %bb.97:                               ;   in Loop: Header=BB0_28 Depth=1
	v_mul_u64_e32 v[10:11], s[34:35], v[74:75]
	v_mov_b32_e32 v13, v75
	v_cmp_lt_u32_e32 vcc_lo, 63, v66
	v_mov_b32_e32 v67, v75
	v_cndmask_b32_e64 v5, 0, 0xffffffc0, vcc_lo
	s_delay_alu instid0(VALU_DEP_1) | instskip(NEXT) | instid1(VALU_DEP_1)
	v_add_nc_u32_e32 v5, v5, v66
	v_cmp_lt_u32_e64 s8, 31, v5
	s_delay_alu instid0(VALU_DEP_1) | instskip(NEXT) | instid1(VALU_DEP_1)
	v_cndmask_b32_e64 v6, 0, 0xffffffe0, s8
	v_dual_mov_b32 v12, v11 :: v_dual_add_nc_u32 v5, v6, v5
	s_delay_alu instid0(VALU_DEP_1) | instskip(NEXT) | instid1(VALU_DEP_2)
	v_cmp_lt_u32_e64 s9, 31, v5
	v_mad_nc_u64_u32 v[12:13], 0x3c439041, v74, v[12:13]
	v_mov_b32_e32 v69, v75
	s_delay_alu instid0(VALU_DEP_3) | instskip(NEXT) | instid1(VALU_DEP_3)
	v_cndmask_b32_e64 v6, 0, 0xffffffe0, s9
	v_mov_b32_e32 v68, v13
	s_delay_alu instid0(VALU_DEP_1) | instskip(NEXT) | instid1(VALU_DEP_1)
	v_mad_nc_u64_u32 v[68:69], 0xdb629599, v74, v[68:69]
	v_dual_mov_b32 v77, v75 :: v_dual_mov_b32 v76, v69
	s_delay_alu instid0(VALU_DEP_2) | instskip(NEXT) | instid1(VALU_DEP_2)
	v_cndmask_b32_e32 v10, v68, v10, vcc_lo
	v_mad_nc_u64_u32 v[76:77], 0xf534ddc0, v74, v[76:77]
	s_delay_alu instid0(VALU_DEP_1) | instskip(NEXT) | instid1(VALU_DEP_1)
	v_dual_mov_b32 v79, v75 :: v_dual_mov_b32 v78, v77
	v_mad_nc_u64_u32 v[78:79], 0xfc2757d1, v74, v[78:79]
	s_delay_alu instid0(VALU_DEP_1) | instskip(NEXT) | instid1(VALU_DEP_1)
	v_dual_mov_b32 v111, v75 :: v_dual_mov_b32 v110, v79
	v_mad_nc_u64_u32 v[110:111], 0x4e441529, v74, v[110:111]
	s_delay_alu instid0(VALU_DEP_1) | instskip(NEXT) | instid1(VALU_DEP_1)
	v_mov_b32_e32 v66, v111
	v_mad_nc_u64_u32 v[66:67], 0xa2f9836e, v74, v[66:67]
	s_delay_alu instid0(VALU_DEP_3) | instskip(NEXT) | instid1(VALU_DEP_2)
	v_cndmask_b32_e32 v11, v110, v76, vcc_lo
	v_cndmask_b32_e32 v13, v66, v78, vcc_lo
	s_delay_alu instid0(VALU_DEP_3) | instskip(SKIP_1) | instid1(VALU_DEP_2)
	v_dual_cndmask_b32 v66, v67, v110 :: v_dual_cndmask_b32 v67, v78, v68
	v_dual_cndmask_b32 v6, v76, v12 :: v_dual_add_nc_u32 v5, v6, v5
	v_dual_cndmask_b32 v12, v13, v11, s8 :: v_dual_cndmask_b32 v13, v66, v13, s8
	s_delay_alu instid0(VALU_DEP_3) | instskip(NEXT) | instid1(VALU_DEP_3)
	v_cndmask_b32_e64 v11, v11, v67, s8
	v_cmp_eq_u32_e32 vcc_lo, 0, v5
	s_delay_alu instid0(VALU_DEP_4) | instskip(NEXT) | instid1(VALU_DEP_3)
	v_dual_cndmask_b32 v67, v67, v6, s8 :: v_dual_sub_nc_u32 v66, 32, v5
	v_dual_cndmask_b32 v13, v13, v12, s9 :: v_dual_cndmask_b32 v12, v12, v11, s9
	s_delay_alu instid0(VALU_DEP_2) | instskip(NEXT) | instid1(VALU_DEP_2)
	v_dual_cndmask_b32 v6, v6, v10, s8 :: v_dual_cndmask_b32 v11, v11, v67, s9
	v_alignbit_b32 v69, v13, v12, v66
	s_delay_alu instid0(VALU_DEP_1) | instskip(NEXT) | instid1(VALU_DEP_3)
	v_dual_cndmask_b32 v6, v67, v6, s9 :: v_dual_cndmask_b32 v5, v69, v13, vcc_lo
	v_alignbit_b32 v68, v12, v11, v66
	s_delay_alu instid0(VALU_DEP_2) | instskip(NEXT) | instid1(VALU_DEP_2)
	v_alignbit_b32 v66, v11, v6, v66
	v_cndmask_b32_e32 v10, v68, v12, vcc_lo
	s_delay_alu instid0(VALU_DEP_4) | instskip(NEXT) | instid1(VALU_DEP_3)
	v_bfe_u32 v12, v5, 29, 1
	v_cndmask_b32_e32 v11, v66, v11, vcc_lo
	s_delay_alu instid0(VALU_DEP_3) | instskip(NEXT) | instid1(VALU_DEP_3)
	v_alignbit_b32 v13, v5, v10, 30
	v_sub_nc_u32_e32 v67, 0, v12
	s_delay_alu instid0(VALU_DEP_3) | instskip(SKIP_1) | instid1(VALU_DEP_3)
	v_alignbit_b32 v10, v10, v11, 30
	v_alignbit_b32 v6, v11, v6, 30
	v_xor_b32_e32 v13, v13, v67
	s_delay_alu instid0(VALU_DEP_2) | instskip(NEXT) | instid1(VALU_DEP_2)
	v_xor_b32_e32 v6, v6, v67
	v_clz_i32_u32_e32 v66, v13
	s_delay_alu instid0(VALU_DEP_1) | instskip(SKIP_1) | instid1(VALU_DEP_2)
	v_min_u32_e32 v66, 32, v66
	v_dual_lshrrev_b32 v67, 29, v5 :: v_dual_bitop2_b32 v10, v10, v67 bitop3:0x14
	v_dual_lshrrev_b32 v5, 30, v5 :: v_dual_sub_nc_u32 v11, 31, v66
	v_lshlrev_b32_e32 v68, 23, v66
	s_delay_alu instid0(VALU_DEP_2) | instskip(SKIP_2) | instid1(VALU_DEP_2)
	v_alignbit_b32 v13, v13, v10, v11
	v_alignbit_b32 v6, v10, v6, v11
	v_lshlrev_b32_e32 v10, 31, v67
	v_alignbit_b32 v11, v13, v6, 9
	s_delay_alu instid0(VALU_DEP_2) | instskip(SKIP_1) | instid1(VALU_DEP_3)
	v_dual_lshrrev_b32 v13, 9, v13 :: v_dual_bitop2_b32 v67, 0.5, v10 bitop3:0x54
	v_or_b32_e32 v10, 0x33000000, v10
	v_clz_i32_u32_e32 v69, v11
	s_delay_alu instid0(VALU_DEP_3) | instskip(NEXT) | instid1(VALU_DEP_2)
	v_sub_nc_u32_e32 v67, v67, v68
	v_min_u32_e32 v68, 32, v69
	s_delay_alu instid0(VALU_DEP_1) | instskip(NEXT) | instid1(VALU_DEP_1)
	v_add_lshl_u32 v66, v68, v66, 23
	v_dual_sub_nc_u32 v10, v10, v66 :: v_dual_bitop2_b32 v13, v13, v67 bitop3:0x54
	v_not_b32_e32 v67, v68
	v_add_nc_u32_e32 v68, v12, v5
	s_delay_alu instid0(VALU_DEP_2) | instskip(NEXT) | instid1(VALU_DEP_1)
	v_alignbit_b32 v6, v11, v6, v67
	v_dual_mul_f32 v69, 0x3fc90fda, v13 :: v_dual_lshrrev_b32 v6, 9, v6
	s_delay_alu instid0(VALU_DEP_1) | instskip(NEXT) | instid1(VALU_DEP_2)
	v_or_b32_e32 v6, v10, v6
	v_fma_f32 v11, 0x3fc90fda, v13, -v69
	s_delay_alu instid0(VALU_DEP_1) | instskip(NEXT) | instid1(VALU_DEP_1)
	v_fmac_f32_e32 v11, 0x33a22168, v13
	v_fmac_f32_e32 v11, 0x3fc90fda, v6
	s_delay_alu instid0(VALU_DEP_1)
	v_add_f32_e32 v67, v69, v11
                                        ; implicit-def: $vgpr69
	s_and_not1_saveexec_b32 s8, s18
	s_cbranch_execnz .LBB0_99
	s_branch .LBB0_100
.LBB0_98:                               ;   in Loop: Header=BB0_28 Depth=1
	s_and_not1_saveexec_b32 s8, s18
.LBB0_99:                               ;   in Loop: Header=BB0_28 Depth=1
	v_fma_f32 v67, 0xbfc90fda, v69, |v62|
	v_cvt_i32_f32_e32 v68, v69
	s_delay_alu instid0(VALU_DEP_2) | instskip(NEXT) | instid1(VALU_DEP_1)
	v_fmac_f32_e32 v67, 0xb3a22168, v69
	v_fmac_f32_e32 v67, 0xa7c234c4, v69
.LBB0_100:                              ;   in Loop: Header=BB0_28 Depth=1
	s_or_b32 exec_lo, exec_lo, s8
	s_delay_alu instid0(VALU_DEP_1) | instskip(SKIP_1) | instid1(VALU_DEP_2)
	v_dual_mul_f32 v5, v64, v64 :: v_dual_mul_f32 v6, v67, v67
	v_dual_lshlrev_b32 v13, 30, v65 :: v_dual_bitop2_b32 v10, 1, v65 bitop3:0x40
	v_fmaak_f32 v11, s36, v5, 0x3c0881c4
	s_delay_alu instid0(VALU_DEP_2) | instskip(NEXT) | instid1(VALU_DEP_2)
	v_cmp_eq_u32_e32 vcc_lo, 0, v10
	v_dual_fmaak_f32 v11, v5, v11, 0xbe2aaa9d :: v_dual_lshlrev_b32 v10, 30, v68
	s_delay_alu instid0(VALU_DEP_1) | instskip(NEXT) | instid1(VALU_DEP_1)
	v_dual_fmaak_f32 v12, s38, v5, 0xbab64f3b :: v_dual_mul_f32 v11, v5, v11
	v_dual_fmaak_f32 v65, s36, v6, 0x3c0881c4 :: v_dual_fmac_f32 v64, v64, v11
	s_delay_alu instid0(VALU_DEP_1) | instskip(SKIP_2) | instid1(VALU_DEP_3)
	v_fmaak_f32 v65, v6, v65, 0xbe2aaa9d
	v_fmaak_f32 v66, s38, v6, 0xbab64f3b
	v_and_b32_e32 v11, 0x80000000, v13
	v_dual_mul_f32 v65, v6, v65 :: v_dual_fmaak_f32 v12, v5, v12, 0x3d2aabf7
	s_delay_alu instid0(VALU_DEP_1) | instskip(NEXT) | instid1(VALU_DEP_2)
	v_dual_fmaak_f32 v66, v6, v66, 0x3d2aabf7 :: v_dual_fmac_f32 v67, v67, v65
	v_fmaak_f32 v12, v5, v12, 0xbf000004
	s_delay_alu instid0(VALU_DEP_2) | instskip(NEXT) | instid1(VALU_DEP_2)
	v_fmaak_f32 v66, v6, v66, 0xbf000004
	v_fma_f32 v5, v5, v12, 1.0
	s_delay_alu instid0(VALU_DEP_2) | instskip(SKIP_1) | instid1(VALU_DEP_3)
	v_fma_f32 v6, v6, v66, 1.0
	v_and_b32_e32 v69, 1, v68
	v_dual_cndmask_b32 v5, v5, v64, vcc_lo :: v_dual_bitop2_b32 v63, v63, v62 bitop3:0x14
	s_delay_alu instid0(VALU_DEP_2) | instskip(NEXT) | instid1(VALU_DEP_2)
	v_cmp_eq_u32_e32 vcc_lo, 0, v69
	v_xor3_b32 v5, v63, v11, v5
	v_cndmask_b32_e64 v6, -v67, v6, vcc_lo
	v_cmp_class_f32_e64 vcc_lo, v62, 0x1f8
	s_delay_alu instid0(VALU_DEP_2) | instskip(NEXT) | instid1(VALU_DEP_4)
	v_bitop3_b32 v6, v10, v6, 0x80000000 bitop3:0x6c
	v_cndmask_b32_e32 v63, 0x7fc00000, v5, vcc_lo
	s_delay_alu instid0(VALU_DEP_1) | instskip(NEXT) | instid1(VALU_DEP_1)
	v_dual_cndmask_b32 v5, 0x7fc00000, v6 :: v_dual_mul_f32 v6, v63, v63
	v_div_scale_f32 v10, null, v5, v5, v6
	s_delay_alu instid0(VALU_DEP_1) | instskip(SKIP_1) | instid1(TRANS32_DEP_1)
	v_rcp_f32_e32 v11, v10
	v_nop
	v_fma_f32 v12, -v10, v11, 1.0
	s_delay_alu instid0(VALU_DEP_1) | instskip(SKIP_1) | instid1(VALU_DEP_1)
	v_fmac_f32_e32 v11, v12, v11
	v_div_scale_f32 v12, vcc_lo, v6, v5, v6
	v_mul_f32_e32 v13, v12, v11
	s_delay_alu instid0(VALU_DEP_1) | instskip(NEXT) | instid1(VALU_DEP_1)
	v_fma_f32 v62, -v10, v13, v12
	v_fmac_f32_e32 v13, v62, v11
	s_delay_alu instid0(VALU_DEP_1) | instskip(NEXT) | instid1(VALU_DEP_1)
	v_fma_f32 v10, -v10, v13, v12
	v_div_fmas_f32 v10, v10, v11, v13
	s_delay_alu instid0(VALU_DEP_1)
	v_div_fixup_f32 v62, v10, v5, v6
                                        ; implicit-def: $vgpr6
.LBB0_101:                              ;   in Loop: Header=BB0_28 Depth=1
	s_and_not1_saveexec_b32 s17, s17
	s_cbranch_execz .LBB0_113
; %bb.102:                              ;   in Loop: Header=BB0_28 Depth=1
	s_mov_b32 s18, exec_lo
	v_cmpx_eq_u32_e32 34, v6
	s_cbranch_execz .LBB0_112
; %bb.103:                              ;   in Loop: Header=BB0_28 Depth=1
	global_load_b32 v5, v[118:119], off
	scratch_load_b64 v[10:11], off, off offset:16 ; 8-byte Folded Reload
                                        ; implicit-def: $vgpr66
                                        ; implicit-def: $vgpr65
	s_wait_loadcnt 0x1
	v_add_f32_e32 v5, v5, v5
	s_wait_loadcnt 0x0
	global_load_b32 v62, v[10:11], off
	v_mul_f32_e32 v63, 0x40490fdb, v5
	s_delay_alu instid0(VALU_DEP_1) | instskip(SKIP_1) | instid1(VALU_DEP_2)
	v_and_b32_e32 v64, 0x7fffffff, v63
	v_cmp_ngt_f32_e64 s19, 0x48000000, |v63|
	v_lshrrev_b32_e32 v5, 23, v64
	v_and_or_b32 v74, v64, s33, 0x800000
	s_delay_alu instid0(VALU_DEP_2) | instskip(SKIP_2) | instid1(SALU_CYCLE_1)
	v_add_nc_u32_e32 v67, 0xffffff88, v5
	s_wait_xcnt 0x0
	s_and_saveexec_b32 s8, s19
	s_xor_b32 s20, exec_lo, s8
	s_cbranch_execz .LBB0_105
; %bb.104:                              ;   in Loop: Header=BB0_28 Depth=1
	v_mul_u64_e32 v[10:11], s[34:35], v[74:75]
	v_mov_b32_e32 v13, v75
	v_cmp_lt_u32_e32 vcc_lo, 63, v67
	v_mov_b32_e32 v113, v75
	v_cndmask_b32_e64 v5, 0, 0xffffffc0, vcc_lo
	s_delay_alu instid0(VALU_DEP_1) | instskip(NEXT) | instid1(VALU_DEP_1)
	v_add_nc_u32_e32 v5, v5, v67
	v_cmp_lt_u32_e64 s8, 31, v5
	s_delay_alu instid0(VALU_DEP_1) | instskip(NEXT) | instid1(VALU_DEP_1)
	v_cndmask_b32_e64 v6, 0, 0xffffffe0, s8
	v_dual_mov_b32 v12, v11 :: v_dual_add_nc_u32 v5, v6, v5
	s_delay_alu instid0(VALU_DEP_1) | instskip(NEXT) | instid1(VALU_DEP_2)
	v_cmp_lt_u32_e64 s9, 31, v5
	v_mad_nc_u64_u32 v[12:13], 0x3c439041, v74, v[12:13]
	v_mov_b32_e32 v69, v75
	s_delay_alu instid0(VALU_DEP_3) | instskip(NEXT) | instid1(VALU_DEP_3)
	v_cndmask_b32_e64 v6, 0, 0xffffffe0, s9
	v_mov_b32_e32 v68, v13
	s_delay_alu instid0(VALU_DEP_1) | instskip(NEXT) | instid1(VALU_DEP_1)
	v_mad_nc_u64_u32 v[68:69], 0xdb629599, v74, v[68:69]
	v_dual_mov_b32 v77, v75 :: v_dual_mov_b32 v76, v69
	s_delay_alu instid0(VALU_DEP_1) | instskip(SKIP_1) | instid1(VALU_DEP_2)
	v_mad_nc_u64_u32 v[76:77], 0xf534ddc0, v74, v[76:77]
	v_dual_mov_b32 v79, v75 :: v_dual_add_nc_u32 v5, v6, v5
	v_dual_cndmask_b32 v6, v76, v12, vcc_lo :: v_dual_mov_b32 v78, v77
	s_delay_alu instid0(VALU_DEP_1) | instskip(NEXT) | instid1(VALU_DEP_1)
	v_mad_nc_u64_u32 v[78:79], 0xfc2757d1, v74, v[78:79]
	v_dual_mov_b32 v111, v75 :: v_dual_mov_b32 v110, v79
	s_delay_alu instid0(VALU_DEP_2) | instskip(NEXT) | instid1(VALU_DEP_2)
	v_cndmask_b32_e32 v66, v78, v68, vcc_lo
	v_mad_nc_u64_u32 v[110:111], 0x4e441529, v74, v[110:111]
	s_delay_alu instid0(VALU_DEP_1) | instskip(NEXT) | instid1(VALU_DEP_1)
	v_mov_b32_e32 v112, v111
	v_mad_nc_u64_u32 v[112:113], 0xa2f9836e, v74, v[112:113]
	s_delay_alu instid0(VALU_DEP_1) | instskip(NEXT) | instid1(VALU_DEP_2)
	v_dual_cndmask_b32 v11, v110, v76, vcc_lo :: v_dual_cndmask_b32 v13, v112, v78, vcc_lo
	v_cndmask_b32_e32 v65, v113, v110, vcc_lo
	s_delay_alu instid0(VALU_DEP_2) | instskip(NEXT) | instid1(VALU_DEP_2)
	v_dual_cndmask_b32 v12, v13, v11, s8 :: v_dual_cndmask_b32 v11, v11, v66, s8
	v_dual_cndmask_b32 v13, v65, v13, s8 :: v_dual_cndmask_b32 v66, v66, v6, s8
	s_delay_alu instid0(VALU_DEP_1) | instskip(NEXT) | instid1(VALU_DEP_2)
	v_dual_sub_nc_u32 v65, 32, v5 :: v_dual_cndmask_b32 v13, v13, v12, s9
	v_dual_cndmask_b32 v12, v12, v11, s9 :: v_dual_cndmask_b32 v11, v11, v66, s9
	s_delay_alu instid0(VALU_DEP_1) | instskip(SKIP_2) | instid1(VALU_DEP_4)
	v_alignbit_b32 v69, v13, v12, v65
	v_cndmask_b32_e32 v10, v68, v10, vcc_lo
	v_cmp_eq_u32_e32 vcc_lo, 0, v5
	v_alignbit_b32 v68, v12, v11, v65
	s_delay_alu instid0(VALU_DEP_3) | instskip(NEXT) | instid1(VALU_DEP_2)
	v_dual_cndmask_b32 v5, v69, v13, vcc_lo :: v_dual_cndmask_b32 v6, v6, v10, s8
	v_cndmask_b32_e32 v10, v68, v12, vcc_lo
	s_delay_alu instid0(VALU_DEP_2) | instskip(NEXT) | instid1(VALU_DEP_3)
	v_bfe_u32 v12, v5, 29, 1
	v_cndmask_b32_e64 v6, v66, v6, s9
	s_delay_alu instid0(VALU_DEP_3) | instskip(NEXT) | instid1(VALU_DEP_3)
	v_alignbit_b32 v13, v5, v10, 30
	v_sub_nc_u32_e32 v66, 0, v12
	s_delay_alu instid0(VALU_DEP_3) | instskip(NEXT) | instid1(VALU_DEP_2)
	v_alignbit_b32 v65, v11, v6, v65
	v_xor_b32_e32 v13, v13, v66
	s_delay_alu instid0(VALU_DEP_2) | instskip(NEXT) | instid1(VALU_DEP_2)
	v_cndmask_b32_e32 v11, v65, v11, vcc_lo
	v_clz_i32_u32_e32 v65, v13
	s_delay_alu instid0(VALU_DEP_2) | instskip(NEXT) | instid1(VALU_DEP_2)
	v_alignbit_b32 v10, v10, v11, 30
	v_min_u32_e32 v65, 32, v65
	s_delay_alu instid0(VALU_DEP_2) | instskip(SKIP_1) | instid1(VALU_DEP_3)
	v_xor_b32_e32 v10, v10, v66
	v_alignbit_b32 v6, v11, v6, 30
	v_dual_sub_nc_u32 v11, 31, v65 :: v_dual_lshlrev_b32 v68, 23, v65
	s_delay_alu instid0(VALU_DEP_2) | instskip(SKIP_1) | instid1(VALU_DEP_3)
	v_dual_lshrrev_b32 v66, 29, v5 :: v_dual_bitop2_b32 v6, v6, v66 bitop3:0x14
	v_lshrrev_b32_e32 v5, 30, v5
	v_alignbit_b32 v13, v13, v10, v11
	s_delay_alu instid0(VALU_DEP_3) | instskip(NEXT) | instid1(VALU_DEP_4)
	v_alignbit_b32 v6, v10, v6, v11
	v_lshlrev_b32_e32 v10, 31, v66
	s_delay_alu instid0(VALU_DEP_2) | instskip(NEXT) | instid1(VALU_DEP_2)
	v_alignbit_b32 v11, v13, v6, 9
	v_dual_lshrrev_b32 v13, 9, v13 :: v_dual_bitop2_b32 v66, 0.5, v10 bitop3:0x54
	v_or_b32_e32 v10, 0x33000000, v10
	s_delay_alu instid0(VALU_DEP_3) | instskip(NEXT) | instid1(VALU_DEP_3)
	v_clz_i32_u32_e32 v69, v11
	v_sub_nc_u32_e32 v66, v66, v68
	s_delay_alu instid0(VALU_DEP_2) | instskip(NEXT) | instid1(VALU_DEP_1)
	v_min_u32_e32 v68, 32, v69
	v_add_lshl_u32 v65, v68, v65, 23
	s_delay_alu instid0(VALU_DEP_3) | instskip(SKIP_1) | instid1(VALU_DEP_3)
	v_or_b32_e32 v13, v13, v66
	v_not_b32_e32 v66, v68
	v_sub_nc_u32_e32 v10, v10, v65
	s_delay_alu instid0(VALU_DEP_3) | instskip(NEXT) | instid1(VALU_DEP_3)
	v_mul_f32_e32 v69, 0x3fc90fda, v13
	v_alignbit_b32 v6, v11, v6, v66
	v_add_nc_u32_e32 v66, v12, v5
	s_delay_alu instid0(VALU_DEP_3) | instskip(NEXT) | instid1(VALU_DEP_1)
	v_fma_f32 v11, 0x3fc90fda, v13, -v69
	v_dual_fmac_f32 v11, 0x33a22168, v13 :: v_dual_lshrrev_b32 v6, 9, v6
	s_delay_alu instid0(VALU_DEP_1) | instskip(NEXT) | instid1(VALU_DEP_1)
	v_or_b32_e32 v6, v10, v6
	v_fmac_f32_e32 v11, 0x3fc90fda, v6
	s_delay_alu instid0(VALU_DEP_1)
	v_add_f32_e32 v65, v69, v11
.LBB0_105:                              ;   in Loop: Header=BB0_28 Depth=1
	s_or_saveexec_b32 s8, s20
	v_mul_f32_e64 v5, 0x3f22f983, |v63|
	s_delay_alu instid0(VALU_DEP_1)
	v_rndne_f32_e32 v109, v5
	s_xor_b32 exec_lo, exec_lo, s8
; %bb.106:                              ;   in Loop: Header=BB0_28 Depth=1
	s_delay_alu instid0(VALU_DEP_1) | instskip(SKIP_1) | instid1(VALU_DEP_2)
	v_fma_f32 v65, 0xbfc90fda, v109, |v63|
	v_cvt_i32_f32_e32 v66, v109
	v_fmac_f32_e32 v65, 0xb3a22168, v109
	s_delay_alu instid0(VALU_DEP_1)
	v_fmac_f32_e32 v65, 0xa7c234c4, v109
; %bb.107:                              ;   in Loop: Header=BB0_28 Depth=1
	s_or_b32 exec_lo, exec_lo, s8
                                        ; implicit-def: $vgpr69
                                        ; implicit-def: $vgpr68
	s_and_saveexec_b32 s8, s19
	s_delay_alu instid0(SALU_CYCLE_1)
	s_xor_b32 s19, exec_lo, s8
	s_cbranch_execz .LBB0_109
; %bb.108:                              ;   in Loop: Header=BB0_28 Depth=1
	v_mul_u64_e32 v[10:11], s[34:35], v[74:75]
	v_mov_b32_e32 v13, v75
	v_cmp_lt_u32_e32 vcc_lo, 63, v67
                                        ; implicit-def: $vgpr109
	v_mov_b32_e32 v113, v75
	v_cndmask_b32_e64 v5, 0, 0xffffffc0, vcc_lo
	s_delay_alu instid0(VALU_DEP_1) | instskip(NEXT) | instid1(VALU_DEP_1)
	v_add_nc_u32_e32 v5, v5, v67
	v_cmp_lt_u32_e64 s8, 31, v5
	s_delay_alu instid0(VALU_DEP_1) | instskip(NEXT) | instid1(VALU_DEP_1)
	v_cndmask_b32_e64 v6, 0, 0xffffffe0, s8
	v_dual_mov_b32 v12, v11 :: v_dual_add_nc_u32 v5, v6, v5
	s_delay_alu instid0(VALU_DEP_1) | instskip(NEXT) | instid1(VALU_DEP_2)
	v_cmp_lt_u32_e64 s9, 31, v5
	v_mad_nc_u64_u32 v[12:13], 0x3c439041, v74, v[12:13]
	v_mov_b32_e32 v69, v75
	s_delay_alu instid0(VALU_DEP_3) | instskip(NEXT) | instid1(VALU_DEP_3)
	v_cndmask_b32_e64 v6, 0, 0xffffffe0, s9
	v_mov_b32_e32 v68, v13
	s_delay_alu instid0(VALU_DEP_1) | instskip(NEXT) | instid1(VALU_DEP_1)
	v_mad_nc_u64_u32 v[68:69], 0xdb629599, v74, v[68:69]
	v_dual_mov_b32 v77, v75 :: v_dual_mov_b32 v76, v69
	s_delay_alu instid0(VALU_DEP_1) | instskip(SKIP_1) | instid1(VALU_DEP_2)
	v_mad_nc_u64_u32 v[76:77], 0xf534ddc0, v74, v[76:77]
	v_dual_mov_b32 v79, v75 :: v_dual_add_nc_u32 v5, v6, v5
	v_dual_cndmask_b32 v6, v76, v12, vcc_lo :: v_dual_mov_b32 v78, v77
	s_delay_alu instid0(VALU_DEP_1) | instskip(NEXT) | instid1(VALU_DEP_1)
	v_mad_nc_u64_u32 v[78:79], 0xfc2757d1, v74, v[78:79]
	v_dual_mov_b32 v111, v75 :: v_dual_mov_b32 v110, v79
	s_delay_alu instid0(VALU_DEP_2) | instskip(NEXT) | instid1(VALU_DEP_2)
	v_cndmask_b32_e32 v69, v78, v68, vcc_lo
	v_mad_nc_u64_u32 v[110:111], 0x4e441529, v74, v[110:111]
	s_delay_alu instid0(VALU_DEP_1) | instskip(NEXT) | instid1(VALU_DEP_1)
	v_mov_b32_e32 v112, v111
	v_mad_nc_u64_u32 v[112:113], 0xa2f9836e, v74, v[112:113]
	s_delay_alu instid0(VALU_DEP_1) | instskip(NEXT) | instid1(VALU_DEP_2)
	v_dual_cndmask_b32 v11, v110, v76, vcc_lo :: v_dual_cndmask_b32 v13, v112, v78, vcc_lo
	v_cndmask_b32_e32 v67, v113, v110, vcc_lo
	s_delay_alu instid0(VALU_DEP_1) | instskip(SKIP_1) | instid1(VALU_DEP_2)
	v_dual_cndmask_b32 v12, v13, v11, s8 :: v_dual_cndmask_b32 v13, v67, v13, s8
	v_dual_cndmask_b32 v11, v11, v69, s8 :: v_dual_cndmask_b32 v69, v69, v6, s8
	v_dual_sub_nc_u32 v67, 32, v5 :: v_dual_cndmask_b32 v13, v13, v12, s9
	s_delay_alu instid0(VALU_DEP_2) | instskip(NEXT) | instid1(VALU_DEP_1)
	v_dual_cndmask_b32 v12, v12, v11, s9 :: v_dual_cndmask_b32 v11, v11, v69, s9
	v_alignbit_b32 v74, v13, v12, v67
	v_cndmask_b32_e32 v10, v68, v10, vcc_lo
	v_cmp_eq_u32_e32 vcc_lo, 0, v5
	s_delay_alu instid0(VALU_DEP_4) | instskip(NEXT) | instid1(VALU_DEP_4)
	v_alignbit_b32 v68, v12, v11, v67
	v_cndmask_b32_e32 v5, v74, v13, vcc_lo
	s_delay_alu instid0(VALU_DEP_2) | instskip(NEXT) | instid1(VALU_DEP_2)
	v_dual_cndmask_b32 v6, v6, v10, s8 :: v_dual_cndmask_b32 v10, v68, v12, vcc_lo
	v_bfe_u32 v12, v5, 29, 1
	s_delay_alu instid0(VALU_DEP_2) | instskip(NEXT) | instid1(VALU_DEP_3)
	v_cndmask_b32_e64 v6, v69, v6, s9
	v_alignbit_b32 v13, v5, v10, 30
	s_delay_alu instid0(VALU_DEP_3) | instskip(NEXT) | instid1(VALU_DEP_3)
	v_sub_nc_u32_e32 v68, 0, v12
	v_alignbit_b32 v67, v11, v6, v67
	s_delay_alu instid0(VALU_DEP_1) | instskip(NEXT) | instid1(VALU_DEP_1)
	v_dual_cndmask_b32 v11, v67, v11, vcc_lo :: v_dual_bitop2_b32 v13, v13, v68 bitop3:0x14
	v_clz_i32_u32_e32 v67, v13
	s_delay_alu instid0(VALU_DEP_2) | instskip(SKIP_1) | instid1(VALU_DEP_3)
	v_alignbit_b32 v10, v10, v11, 30
	v_alignbit_b32 v6, v11, v6, 30
	v_min_u32_e32 v67, 32, v67
	s_delay_alu instid0(VALU_DEP_3) | instskip(NEXT) | instid1(VALU_DEP_3)
	v_xor_b32_e32 v10, v10, v68
	v_dual_lshrrev_b32 v68, 29, v5 :: v_dual_bitop2_b32 v6, v6, v68 bitop3:0x14
	s_delay_alu instid0(VALU_DEP_3) | instskip(SKIP_1) | instid1(VALU_DEP_2)
	v_dual_lshrrev_b32 v5, 30, v5 :: v_dual_sub_nc_u32 v11, 31, v67
	v_lshlrev_b32_e32 v69, 23, v67
	v_alignbit_b32 v13, v13, v10, v11
	s_delay_alu instid0(VALU_DEP_4) | instskip(SKIP_1) | instid1(VALU_DEP_2)
	v_alignbit_b32 v6, v10, v6, v11
	v_lshlrev_b32_e32 v10, 31, v68
	v_alignbit_b32 v11, v13, v6, 9
	s_delay_alu instid0(VALU_DEP_2) | instskip(SKIP_1) | instid1(VALU_DEP_3)
	v_dual_lshrrev_b32 v13, 9, v13 :: v_dual_bitop2_b32 v68, 0.5, v10 bitop3:0x54
	v_or_b32_e32 v10, 0x33000000, v10
	v_clz_i32_u32_e32 v74, v11
	s_delay_alu instid0(VALU_DEP_3) | instskip(NEXT) | instid1(VALU_DEP_2)
	v_sub_nc_u32_e32 v68, v68, v69
	v_min_u32_e32 v69, 32, v74
	s_delay_alu instid0(VALU_DEP_1) | instskip(NEXT) | instid1(VALU_DEP_1)
	v_add_lshl_u32 v67, v69, v67, 23
	v_dual_sub_nc_u32 v10, v10, v67 :: v_dual_bitop2_b32 v13, v13, v68 bitop3:0x54
	v_not_b32_e32 v68, v69
	v_add_nc_u32_e32 v69, v12, v5
	s_delay_alu instid0(VALU_DEP_2) | instskip(NEXT) | instid1(VALU_DEP_1)
	v_alignbit_b32 v6, v11, v6, v68
	v_lshrrev_b32_e32 v6, 9, v6
	s_delay_alu instid0(VALU_DEP_1) | instskip(SKIP_1) | instid1(VALU_DEP_1)
	v_or_b32_e32 v6, v10, v6
	v_mul_f32_e32 v74, 0x3fc90fda, v13
	v_fma_f32 v11, 0x3fc90fda, v13, -v74
	s_delay_alu instid0(VALU_DEP_1) | instskip(NEXT) | instid1(VALU_DEP_1)
	v_fmac_f32_e32 v11, 0x33a22168, v13
	v_fmac_f32_e32 v11, 0x3fc90fda, v6
	s_delay_alu instid0(VALU_DEP_1)
	v_add_f32_e32 v68, v74, v11
	s_and_not1_saveexec_b32 s8, s19
	s_cbranch_execnz .LBB0_110
	s_branch .LBB0_111
.LBB0_109:                              ;   in Loop: Header=BB0_28 Depth=1
	s_and_not1_saveexec_b32 s8, s19
.LBB0_110:                              ;   in Loop: Header=BB0_28 Depth=1
	v_fma_f32 v68, 0xbfc90fda, v109, |v63|
	v_cvt_i32_f32_e32 v69, v109
	s_delay_alu instid0(VALU_DEP_2) | instskip(NEXT) | instid1(VALU_DEP_1)
	v_fmac_f32_e32 v68, 0xb3a22168, v109
	v_fmac_f32_e32 v68, 0xa7c234c4, v109
.LBB0_111:                              ;   in Loop: Header=BB0_28 Depth=1
	s_or_b32 exec_lo, exec_lo, s8
	s_delay_alu instid0(VALU_DEP_1) | instskip(SKIP_2) | instid1(VALU_DEP_3)
	v_dual_mul_f32 v5, v65, v65 :: v_dual_mul_f32 v6, v68, v68
	v_dual_lshlrev_b32 v11, 30, v66 :: v_dual_bitop2_b32 v10, 1, v66 bitop3:0x40
	v_and_b32_e32 v74, 1, v69
	v_fmaak_f32 v12, s36, v5, 0x3c0881c4
	s_delay_alu instid0(VALU_DEP_4) | instskip(SKIP_2) | instid1(VALU_DEP_4)
	v_dual_fmaak_f32 v66, s36, v6, 0x3c0881c4 :: v_dual_lshlrev_b32 v69, 30, v69
	v_fmaak_f32 v67, s38, v6, 0xbab64f3b
	v_cmp_eq_u32_e32 vcc_lo, 0, v10
	v_fmaak_f32 v12, v5, v12, 0xbe2aaa9d
	s_delay_alu instid0(VALU_DEP_1) | instskip(NEXT) | instid1(VALU_DEP_1)
	v_dual_fmaak_f32 v13, s38, v5, 0xbab64f3b :: v_dual_mul_f32 v12, v5, v12
	v_dual_fmaak_f32 v66, v6, v66, 0xbe2aaa9d :: v_dual_fmac_f32 v65, v65, v12
	s_delay_alu instid0(VALU_DEP_1) | instskip(SKIP_1) | instid1(VALU_DEP_2)
	v_dual_mul_f32 v66, v6, v66 :: v_dual_fmaak_f32 v13, v5, v13, 0x3d2aabf7
	v_and_b32_e32 v12, 0x80000000, v69
	v_dual_fmac_f32 v68, v68, v66 :: v_dual_fmaak_f32 v13, v5, v13, 0xbf000004
	s_delay_alu instid0(VALU_DEP_1) | instskip(NEXT) | instid1(VALU_DEP_1)
	v_fma_f32 v5, v5, v13, 1.0
	v_dual_cndmask_b32 v5, -v65, v5, vcc_lo :: v_dual_bitop2_b32 v64, v64, v63 bitop3:0x14
	v_cmp_eq_u32_e32 vcc_lo, 0, v74
	v_fmaak_f32 v67, v6, v67, 0x3d2aabf7
	s_delay_alu instid0(VALU_DEP_3) | instskip(NEXT) | instid1(VALU_DEP_2)
	v_bitop3_b32 v5, v11, v5, 0x80000000 bitop3:0x6c
	v_fmaak_f32 v67, v6, v67, 0xbf000004
	s_delay_alu instid0(VALU_DEP_1) | instskip(NEXT) | instid1(VALU_DEP_1)
	v_fma_f32 v6, v6, v67, 1.0
	v_cndmask_b32_e32 v6, v6, v68, vcc_lo
	v_cmp_class_f32_e64 vcc_lo, v63, 0x1f8
	s_delay_alu instid0(VALU_DEP_2) | instskip(SKIP_2) | instid1(VALU_DEP_1)
	v_xor3_b32 v6, v64, v12, v6
	v_cndmask_b32_e32 v5, 0x7fc00000, v5, vcc_lo
	s_wait_loadcnt 0x0
	v_dual_cndmask_b32 v6, 0x7fc00000, v6 :: v_dual_mul_f32 v63, v62, v5
	s_delay_alu instid0(VALU_DEP_1)
	v_mul_f32_e32 v62, v62, v6
.LBB0_112:                              ;   in Loop: Header=BB0_28 Depth=1
	s_or_b32 exec_lo, exec_lo, s18
.LBB0_113:                              ;   in Loop: Header=BB0_28 Depth=1
	s_delay_alu instid0(SALU_CYCLE_1)
	s_or_b32 exec_lo, exec_lo, s17
.LBB0_114:                              ;   in Loop: Header=BB0_28 Depth=1
	s_delay_alu instid0(SALU_CYCLE_1)
	s_or_b32 exec_lo, exec_lo, s16
.LBB0_115:                              ;   in Loop: Header=BB0_28 Depth=1
	s_delay_alu instid0(SALU_CYCLE_1)
	s_or_b32 exec_lo, exec_lo, s15
                                        ; implicit-def: $vgpr6
.LBB0_116:                              ;   in Loop: Header=BB0_28 Depth=1
	s_and_not1_saveexec_b32 s12, s12
	s_cbranch_execz .LBB0_174
; %bb.117:                              ;   in Loop: Header=BB0_28 Depth=1
	s_mov_b32 s8, exec_lo
	v_cmpx_lt_i32_e32 21, v6
	s_xor_b32 s15, exec_lo, s8
	s_cbranch_execz .LBB0_155
; %bb.118:                              ;   in Loop: Header=BB0_28 Depth=1
	s_mov_b32 s8, exec_lo
	v_cmpx_lt_i32_e32 27, v6
	s_xor_b32 s16, exec_lo, s8
	;; [unrolled: 5-line block ×4, first 2 shown]
	s_cbranch_execz .LBB0_132
; %bb.121:                              ;   in Loop: Header=BB0_28 Depth=1
	s_mov_b32 s19, exec_lo
	v_cmpx_eq_u32_e32 31, v6
	s_cbranch_execz .LBB0_131
; %bb.122:                              ;   in Loop: Header=BB0_28 Depth=1
	global_load_b32 v5, v[118:119], off
	scratch_load_b64 v[10:11], off, off offset:16 ; 8-byte Folded Reload
                                        ; implicit-def: $vgpr68
                                        ; implicit-def: $vgpr67
	s_wait_loadcnt 0x1
	v_add_f32_e32 v5, v5, v5
	s_wait_loadcnt 0x0
	global_load_b32 v64, v[10:11], off
	v_mul_f32_e32 v65, 0x40490fdb, v5
	s_delay_alu instid0(VALU_DEP_1) | instskip(SKIP_1) | instid1(VALU_DEP_2)
	v_and_b32_e32 v66, 0x7fffffff, v65
	v_cmp_ngt_f32_e64 s20, 0x48000000, |v65|
	v_lshrrev_b32_e32 v5, 23, v66
	v_and_or_b32 v74, v66, s33, 0x800000
	s_delay_alu instid0(VALU_DEP_2) | instskip(SKIP_2) | instid1(SALU_CYCLE_1)
	v_add_nc_u32_e32 v69, 0xffffff88, v5
	s_wait_xcnt 0x0
	s_and_saveexec_b32 s8, s20
	s_xor_b32 s21, exec_lo, s8
	s_cbranch_execz .LBB0_124
; %bb.123:                              ;   in Loop: Header=BB0_28 Depth=1
	v_mul_u64_e32 v[10:11], s[34:35], v[74:75]
	v_mov_b32_e32 v13, v75
	v_cmp_lt_u32_e32 vcc_lo, 63, v69
	v_mov_b32_e32 v115, v75
	v_cndmask_b32_e64 v5, 0, 0xffffffc0, vcc_lo
	s_delay_alu instid0(VALU_DEP_1) | instskip(NEXT) | instid1(VALU_DEP_1)
	v_add_nc_u32_e32 v5, v5, v69
	v_cmp_lt_u32_e64 s8, 31, v5
	s_delay_alu instid0(VALU_DEP_1) | instskip(NEXT) | instid1(VALU_DEP_1)
	v_cndmask_b32_e64 v6, 0, 0xffffffe0, s8
	v_dual_mov_b32 v12, v11 :: v_dual_add_nc_u32 v5, v6, v5
	s_delay_alu instid0(VALU_DEP_1) | instskip(NEXT) | instid1(VALU_DEP_2)
	v_cmp_lt_u32_e64 s9, 31, v5
	v_mad_nc_u64_u32 v[12:13], 0x3c439041, v74, v[12:13]
	v_mov_b32_e32 v77, v75
	s_delay_alu instid0(VALU_DEP_3) | instskip(NEXT) | instid1(VALU_DEP_3)
	v_cndmask_b32_e64 v6, 0, 0xffffffe0, s9
	v_mov_b32_e32 v76, v13
	s_delay_alu instid0(VALU_DEP_1) | instskip(NEXT) | instid1(VALU_DEP_1)
	v_mad_nc_u64_u32 v[76:77], 0xdb629599, v74, v[76:77]
	v_dual_mov_b32 v79, v75 :: v_dual_mov_b32 v78, v77
	s_delay_alu instid0(VALU_DEP_1) | instskip(NEXT) | instid1(VALU_DEP_1)
	v_mad_nc_u64_u32 v[78:79], 0xf534ddc0, v74, v[78:79]
	v_dual_mov_b32 v111, v75 :: v_dual_mov_b32 v110, v79
	s_delay_alu instid0(VALU_DEP_1) | instskip(NEXT) | instid1(VALU_DEP_1)
	v_mad_nc_u64_u32 v[110:111], 0xfc2757d1, v74, v[110:111]
	v_dual_mov_b32 v113, v75 :: v_dual_mov_b32 v112, v111
	s_delay_alu instid0(VALU_DEP_1) | instskip(NEXT) | instid1(VALU_DEP_1)
	v_mad_nc_u64_u32 v[112:113], 0x4e441529, v74, v[112:113]
	v_mov_b32_e32 v114, v113
	s_delay_alu instid0(VALU_DEP_1) | instskip(NEXT) | instid1(VALU_DEP_1)
	v_mad_nc_u64_u32 v[114:115], 0xa2f9836e, v74, v[114:115]
	v_dual_cndmask_b32 v11, v112, v78, vcc_lo :: v_dual_cndmask_b32 v67, v115, v112, vcc_lo
	v_cndmask_b32_e32 v68, v110, v76, vcc_lo
	s_delay_alu instid0(VALU_DEP_3) | instskip(SKIP_1) | instid1(VALU_DEP_2)
	v_cndmask_b32_e32 v13, v114, v110, vcc_lo
	v_add_nc_u32_e32 v5, v6, v5
	v_dual_cndmask_b32 v6, v78, v12, vcc_lo :: v_dual_cndmask_b32 v12, v13, v11, s8
	s_delay_alu instid0(VALU_DEP_4) | instskip(NEXT) | instid1(VALU_DEP_2)
	v_cndmask_b32_e64 v11, v11, v68, s8
	v_dual_cndmask_b32 v13, v67, v13, s8 :: v_dual_cndmask_b32 v68, v68, v6, s8
	s_delay_alu instid0(VALU_DEP_1) | instskip(NEXT) | instid1(VALU_DEP_2)
	v_dual_sub_nc_u32 v67, 32, v5 :: v_dual_cndmask_b32 v13, v13, v12, s9
	v_dual_cndmask_b32 v12, v12, v11, s9 :: v_dual_cndmask_b32 v11, v11, v68, s9
	s_delay_alu instid0(VALU_DEP_1) | instskip(SKIP_2) | instid1(VALU_DEP_4)
	v_alignbit_b32 v77, v13, v12, v67
	v_cndmask_b32_e32 v10, v76, v10, vcc_lo
	v_cmp_eq_u32_e32 vcc_lo, 0, v5
	v_alignbit_b32 v76, v12, v11, v67
	s_delay_alu instid0(VALU_DEP_3) | instskip(NEXT) | instid1(VALU_DEP_2)
	v_dual_cndmask_b32 v5, v77, v13, vcc_lo :: v_dual_cndmask_b32 v6, v6, v10, s8
	v_cndmask_b32_e32 v10, v76, v12, vcc_lo
	s_delay_alu instid0(VALU_DEP_2) | instskip(NEXT) | instid1(VALU_DEP_3)
	v_bfe_u32 v12, v5, 29, 1
	v_cndmask_b32_e64 v6, v68, v6, s9
	s_delay_alu instid0(VALU_DEP_3) | instskip(NEXT) | instid1(VALU_DEP_3)
	v_alignbit_b32 v13, v5, v10, 30
	v_sub_nc_u32_e32 v68, 0, v12
	s_delay_alu instid0(VALU_DEP_3) | instskip(NEXT) | instid1(VALU_DEP_1)
	v_alignbit_b32 v67, v11, v6, v67
	v_dual_cndmask_b32 v11, v67, v11, vcc_lo :: v_dual_bitop2_b32 v13, v13, v68 bitop3:0x14
	s_delay_alu instid0(VALU_DEP_1) | instskip(NEXT) | instid1(VALU_DEP_2)
	v_clz_i32_u32_e32 v67, v13
	v_alignbit_b32 v10, v10, v11, 30
	v_alignbit_b32 v6, v11, v6, 30
	s_delay_alu instid0(VALU_DEP_3) | instskip(NEXT) | instid1(VALU_DEP_3)
	v_min_u32_e32 v67, 32, v67
	v_xor_b32_e32 v10, v10, v68
	s_delay_alu instid0(VALU_DEP_3) | instskip(NEXT) | instid1(VALU_DEP_3)
	v_dual_lshrrev_b32 v68, 29, v5 :: v_dual_bitop2_b32 v6, v6, v68 bitop3:0x14
	v_dual_lshrrev_b32 v5, 30, v5 :: v_dual_sub_nc_u32 v11, 31, v67
	v_lshlrev_b32_e32 v76, 23, v67
	s_delay_alu instid0(VALU_DEP_2) | instskip(NEXT) | instid1(VALU_DEP_4)
	v_alignbit_b32 v13, v13, v10, v11
	v_alignbit_b32 v6, v10, v6, v11
	v_lshlrev_b32_e32 v10, 31, v68
	s_delay_alu instid0(VALU_DEP_2) | instskip(NEXT) | instid1(VALU_DEP_2)
	v_alignbit_b32 v11, v13, v6, 9
	v_dual_lshrrev_b32 v13, 9, v13 :: v_dual_bitop2_b32 v68, 0.5, v10 bitop3:0x54
	v_or_b32_e32 v10, 0x33000000, v10
	s_delay_alu instid0(VALU_DEP_3) | instskip(NEXT) | instid1(VALU_DEP_3)
	v_clz_i32_u32_e32 v77, v11
	v_sub_nc_u32_e32 v68, v68, v76
	s_delay_alu instid0(VALU_DEP_2) | instskip(NEXT) | instid1(VALU_DEP_1)
	v_min_u32_e32 v76, 32, v77
	v_add_lshl_u32 v67, v76, v67, 23
	s_delay_alu instid0(VALU_DEP_3) | instskip(SKIP_1) | instid1(VALU_DEP_2)
	v_or_b32_e32 v13, v13, v68
	v_not_b32_e32 v68, v76
	v_dual_mul_f32 v77, 0x3fc90fda, v13 :: v_dual_sub_nc_u32 v10, v10, v67
	s_delay_alu instid0(VALU_DEP_2) | instskip(SKIP_1) | instid1(VALU_DEP_3)
	v_alignbit_b32 v6, v11, v6, v68
	v_add_nc_u32_e32 v68, v12, v5
	v_fma_f32 v11, 0x3fc90fda, v13, -v77
	s_delay_alu instid0(VALU_DEP_1) | instskip(NEXT) | instid1(VALU_DEP_1)
	v_dual_fmac_f32 v11, 0x33a22168, v13 :: v_dual_lshrrev_b32 v6, 9, v6
	v_or_b32_e32 v6, v10, v6
	s_delay_alu instid0(VALU_DEP_1) | instskip(NEXT) | instid1(VALU_DEP_1)
	v_fmac_f32_e32 v11, 0x3fc90fda, v6
	v_add_f32_e32 v67, v77, v11
.LBB0_124:                              ;   in Loop: Header=BB0_28 Depth=1
	s_or_saveexec_b32 s8, s21
	v_mul_f32_e64 v5, 0x3f22f983, |v65|
	s_delay_alu instid0(VALU_DEP_1)
	v_rndne_f32_e32 v111, v5
	s_xor_b32 exec_lo, exec_lo, s8
; %bb.125:                              ;   in Loop: Header=BB0_28 Depth=1
	s_delay_alu instid0(VALU_DEP_1) | instskip(SKIP_1) | instid1(VALU_DEP_2)
	v_fma_f32 v67, 0xbfc90fda, v111, |v65|
	v_cvt_i32_f32_e32 v68, v111
	v_fmac_f32_e32 v67, 0xb3a22168, v111
	s_delay_alu instid0(VALU_DEP_1)
	v_fmac_f32_e32 v67, 0xa7c234c4, v111
; %bb.126:                              ;   in Loop: Header=BB0_28 Depth=1
	s_or_b32 exec_lo, exec_lo, s8
                                        ; implicit-def: $vgpr110
                                        ; implicit-def: $vgpr109
	s_and_saveexec_b32 s8, s20
	s_delay_alu instid0(SALU_CYCLE_1)
	s_xor_b32 s20, exec_lo, s8
	s_cbranch_execz .LBB0_128
; %bb.127:                              ;   in Loop: Header=BB0_28 Depth=1
	v_mul_u64_e32 v[10:11], s[34:35], v[74:75]
	v_mov_b32_e32 v13, v75
	v_cmp_lt_u32_e32 vcc_lo, 63, v69
	v_mov_b32_e32 v115, v75
	v_cndmask_b32_e64 v5, 0, 0xffffffc0, vcc_lo
	s_delay_alu instid0(VALU_DEP_1) | instskip(NEXT) | instid1(VALU_DEP_1)
	v_add_nc_u32_e32 v5, v5, v69
	v_cmp_lt_u32_e64 s8, 31, v5
	s_delay_alu instid0(VALU_DEP_1) | instskip(NEXT) | instid1(VALU_DEP_1)
	v_cndmask_b32_e64 v6, 0, 0xffffffe0, s8
	v_dual_mov_b32 v12, v11 :: v_dual_add_nc_u32 v5, v6, v5
	s_delay_alu instid0(VALU_DEP_1) | instskip(NEXT) | instid1(VALU_DEP_2)
	v_cmp_lt_u32_e64 s9, 31, v5
	v_mad_nc_u64_u32 v[12:13], 0x3c439041, v74, v[12:13]
	v_mov_b32_e32 v77, v75
	s_delay_alu instid0(VALU_DEP_3) | instskip(NEXT) | instid1(VALU_DEP_3)
	v_cndmask_b32_e64 v6, 0, 0xffffffe0, s9
	v_mov_b32_e32 v76, v13
	s_delay_alu instid0(VALU_DEP_1) | instskip(NEXT) | instid1(VALU_DEP_1)
	v_mad_nc_u64_u32 v[76:77], 0xdb629599, v74, v[76:77]
	v_dual_mov_b32 v79, v75 :: v_dual_mov_b32 v78, v77
	s_delay_alu instid0(VALU_DEP_1) | instskip(NEXT) | instid1(VALU_DEP_1)
	v_mad_nc_u64_u32 v[78:79], 0xf534ddc0, v74, v[78:79]
	v_dual_mov_b32 v111, v75 :: v_dual_mov_b32 v110, v79
	;; [unrolled: 3-line block ×3, first 2 shown]
                                        ; implicit-def: $vgpr111
	s_delay_alu instid0(VALU_DEP_1) | instskip(NEXT) | instid1(VALU_DEP_1)
	v_mad_nc_u64_u32 v[112:113], 0x4e441529, v74, v[112:113]
	v_mov_b32_e32 v114, v113
	s_delay_alu instid0(VALU_DEP_1) | instskip(NEXT) | instid1(VALU_DEP_1)
	v_mad_nc_u64_u32 v[114:115], 0xa2f9836e, v74, v[114:115]
	v_dual_cndmask_b32 v11, v112, v78, vcc_lo :: v_dual_cndmask_b32 v69, v115, v112, vcc_lo
	v_add_nc_u32_e32 v5, v6, v5
	s_delay_alu instid0(VALU_DEP_3) | instskip(SKIP_1) | instid1(VALU_DEP_2)
	v_cndmask_b32_e32 v13, v114, v110, vcc_lo
	v_cndmask_b32_e32 v74, v110, v76, vcc_lo
	v_dual_cndmask_b32 v6, v78, v12, vcc_lo :: v_dual_cndmask_b32 v12, v13, v11, s8
	s_delay_alu instid0(VALU_DEP_2) | instskip(NEXT) | instid1(VALU_DEP_2)
	v_dual_cndmask_b32 v13, v69, v13, s8 :: v_dual_cndmask_b32 v11, v11, v74, s8
	v_dual_sub_nc_u32 v69, 32, v5 :: v_dual_cndmask_b32 v74, v74, v6, s8
	s_delay_alu instid0(VALU_DEP_2) | instskip(NEXT) | instid1(VALU_DEP_2)
	v_dual_cndmask_b32 v13, v13, v12, s9 :: v_dual_cndmask_b32 v12, v12, v11, s9
	v_cndmask_b32_e64 v11, v11, v74, s9
	s_delay_alu instid0(VALU_DEP_2) | instskip(SKIP_2) | instid1(VALU_DEP_4)
	v_alignbit_b32 v77, v13, v12, v69
	v_cndmask_b32_e32 v10, v76, v10, vcc_lo
	v_cmp_eq_u32_e32 vcc_lo, 0, v5
	v_alignbit_b32 v76, v12, v11, v69
	s_delay_alu instid0(VALU_DEP_3) | instskip(NEXT) | instid1(VALU_DEP_2)
	v_dual_cndmask_b32 v5, v77, v13, vcc_lo :: v_dual_cndmask_b32 v6, v6, v10, s8
	v_cndmask_b32_e32 v10, v76, v12, vcc_lo
	s_delay_alu instid0(VALU_DEP_2) | instskip(NEXT) | instid1(VALU_DEP_3)
	v_bfe_u32 v12, v5, 29, 1
	v_cndmask_b32_e64 v6, v74, v6, s9
	s_delay_alu instid0(VALU_DEP_3) | instskip(NEXT) | instid1(VALU_DEP_3)
	v_alignbit_b32 v13, v5, v10, 30
	v_sub_nc_u32_e32 v74, 0, v12
	s_delay_alu instid0(VALU_DEP_3) | instskip(NEXT) | instid1(VALU_DEP_2)
	v_alignbit_b32 v69, v11, v6, v69
	v_xor_b32_e32 v13, v13, v74
	s_delay_alu instid0(VALU_DEP_2) | instskip(NEXT) | instid1(VALU_DEP_2)
	v_cndmask_b32_e32 v11, v69, v11, vcc_lo
	v_clz_i32_u32_e32 v69, v13
	s_delay_alu instid0(VALU_DEP_2) | instskip(NEXT) | instid1(VALU_DEP_2)
	v_alignbit_b32 v10, v10, v11, 30
	v_min_u32_e32 v69, 32, v69
	s_delay_alu instid0(VALU_DEP_2) | instskip(SKIP_1) | instid1(VALU_DEP_3)
	v_xor_b32_e32 v10, v10, v74
	v_alignbit_b32 v6, v11, v6, 30
	v_dual_sub_nc_u32 v11, 31, v69 :: v_dual_lshlrev_b32 v76, 23, v69
	s_delay_alu instid0(VALU_DEP_2) | instskip(SKIP_1) | instid1(VALU_DEP_3)
	v_dual_lshrrev_b32 v74, 29, v5 :: v_dual_bitop2_b32 v6, v6, v74 bitop3:0x14
	v_lshrrev_b32_e32 v5, 30, v5
	v_alignbit_b32 v13, v13, v10, v11
	s_delay_alu instid0(VALU_DEP_3) | instskip(NEXT) | instid1(VALU_DEP_3)
	v_alignbit_b32 v6, v10, v6, v11
	v_dual_lshlrev_b32 v10, 31, v74 :: v_dual_add_nc_u32 v110, v12, v5
	s_delay_alu instid0(VALU_DEP_2) | instskip(NEXT) | instid1(VALU_DEP_2)
	v_alignbit_b32 v11, v13, v6, 9
	v_dual_lshrrev_b32 v13, 9, v13 :: v_dual_bitop2_b32 v74, 0.5, v10 bitop3:0x54
	v_or_b32_e32 v10, 0x33000000, v10
	s_delay_alu instid0(VALU_DEP_3) | instskip(NEXT) | instid1(VALU_DEP_3)
	v_clz_i32_u32_e32 v77, v11
	v_sub_nc_u32_e32 v74, v74, v76
	s_delay_alu instid0(VALU_DEP_2) | instskip(NEXT) | instid1(VALU_DEP_1)
	v_min_u32_e32 v76, 32, v77
	v_add_lshl_u32 v69, v76, v69, 23
	s_delay_alu instid0(VALU_DEP_3) | instskip(SKIP_1) | instid1(VALU_DEP_3)
	v_or_b32_e32 v13, v13, v74
	v_not_b32_e32 v74, v76
	v_sub_nc_u32_e32 v10, v10, v69
	s_delay_alu instid0(VALU_DEP_3) | instskip(NEXT) | instid1(VALU_DEP_3)
	v_mul_f32_e32 v77, 0x3fc90fda, v13
	v_alignbit_b32 v6, v11, v6, v74
	s_delay_alu instid0(VALU_DEP_2) | instskip(NEXT) | instid1(VALU_DEP_1)
	v_fma_f32 v11, 0x3fc90fda, v13, -v77
	v_dual_fmac_f32 v11, 0x33a22168, v13 :: v_dual_lshrrev_b32 v6, 9, v6
	s_delay_alu instid0(VALU_DEP_1) | instskip(NEXT) | instid1(VALU_DEP_1)
	v_or_b32_e32 v6, v10, v6
	v_fmac_f32_e32 v11, 0x3fc90fda, v6
	s_delay_alu instid0(VALU_DEP_1)
	v_add_f32_e32 v109, v77, v11
	s_and_not1_saveexec_b32 s8, s20
	s_cbranch_execnz .LBB0_129
	s_branch .LBB0_130
.LBB0_128:                              ;   in Loop: Header=BB0_28 Depth=1
	s_and_not1_saveexec_b32 s8, s20
.LBB0_129:                              ;   in Loop: Header=BB0_28 Depth=1
	v_fma_f32 v109, 0xbfc90fda, v111, |v65|
	v_cvt_i32_f32_e32 v110, v111
	s_delay_alu instid0(VALU_DEP_2) | instskip(NEXT) | instid1(VALU_DEP_1)
	v_fmac_f32_e32 v109, 0xb3a22168, v111
	v_fmac_f32_e32 v109, 0xa7c234c4, v111
.LBB0_130:                              ;   in Loop: Header=BB0_28 Depth=1
	s_or_b32 exec_lo, exec_lo, s8
	s_delay_alu instid0(VALU_DEP_1) | instskip(SKIP_2) | instid1(VALU_DEP_3)
	v_dual_mul_f32 v5, v67, v67 :: v_dual_mul_f32 v6, v109, v109
	v_dual_lshlrev_b32 v11, 30, v68 :: v_dual_bitop2_b32 v10, 1, v68 bitop3:0x40
	v_xor_b32_e32 v66, v66, v65
	v_dual_fmaak_f32 v13, s38, v5, 0xbab64f3b :: v_dual_lshlrev_b32 v76, 30, v110
	s_delay_alu instid0(VALU_DEP_4) | instskip(NEXT) | instid1(VALU_DEP_4)
	v_fmaak_f32 v68, s36, v6, 0x3c0881c4
	v_cmp_eq_u32_e32 vcc_lo, 0, v10
	s_wait_loadcnt 0x0
	s_delay_alu instid0(VALU_DEP_3) | instskip(NEXT) | instid1(VALU_DEP_3)
	v_dual_mul_f32 v10, v63, v64 :: v_dual_fmaak_f32 v13, v5, v13, 0x3d2aabf7
	v_fmaak_f32 v68, v6, v68, 0xbe2aaa9d
	v_and_b32_e32 v74, 1, v110
	s_delay_alu instid0(VALU_DEP_2) | instskip(NEXT) | instid1(VALU_DEP_1)
	v_dual_fmaak_f32 v13, v5, v13, 0xbf000004 :: v_dual_mul_f32 v68, v6, v68
	v_dual_fmaak_f32 v12, s36, v5, 0x3c0881c4 :: v_dual_fmac_f32 v109, v109, v68
	s_delay_alu instid0(VALU_DEP_1) | instskip(NEXT) | instid1(VALU_DEP_1)
	v_fmaak_f32 v12, v5, v12, 0xbe2aaa9d
	v_dual_fmaak_f32 v69, s38, v6, 0xbab64f3b :: v_dual_mul_f32 v12, v5, v12
	s_delay_alu instid0(VALU_DEP_4) | instskip(NEXT) | instid1(VALU_DEP_2)
	v_fma_f32 v5, v5, v13, 1.0
	v_fmac_f32_e32 v67, v67, v12
	v_and_b32_e32 v12, 0x80000000, v76
	s_delay_alu instid0(VALU_DEP_2) | instskip(SKIP_1) | instid1(VALU_DEP_2)
	v_cndmask_b32_e64 v5, -v67, v5, vcc_lo
	v_cmp_eq_u32_e32 vcc_lo, 0, v74
	v_bitop3_b32 v5, v11, v5, 0x80000000 bitop3:0x6c
	v_mul_f32_e32 v11, v62, v64
	v_fmaak_f32 v69, v6, v69, 0x3d2aabf7
	s_delay_alu instid0(VALU_DEP_1) | instskip(NEXT) | instid1(VALU_DEP_1)
	v_fmaak_f32 v69, v6, v69, 0xbf000004
	v_fma_f32 v6, v6, v69, 1.0
	s_delay_alu instid0(VALU_DEP_1) | instskip(SKIP_1) | instid1(VALU_DEP_2)
	v_cndmask_b32_e32 v6, v6, v109, vcc_lo
	v_cmp_class_f32_e64 vcc_lo, v65, 0x1f8
	v_xor3_b32 v6, v66, v12, v6
	v_cndmask_b32_e32 v5, 0x7fc00000, v5, vcc_lo
	s_delay_alu instid0(VALU_DEP_1) | instskip(NEXT) | instid1(VALU_DEP_1)
	v_dual_cndmask_b32 v6, 0x7fc00000, v6 :: v_dual_mul_f32 v63, v10, v5
	v_mul_f32_e32 v62, v11, v6
.LBB0_131:                              ;   in Loop: Header=BB0_28 Depth=1
	s_or_b32 exec_lo, exec_lo, s19
                                        ; implicit-def: $vgpr6
.LBB0_132:                              ;   in Loop: Header=BB0_28 Depth=1
	s_and_not1_saveexec_b32 s8, s18
	s_cbranch_execz .LBB0_136
; %bb.133:                              ;   in Loop: Header=BB0_28 Depth=1
	s_mov_b32 s9, exec_lo
	v_cmpx_eq_u32_e32 29, v6
	s_cbranch_execz .LBB0_135
; %bb.134:                              ;   in Loop: Header=BB0_28 Depth=1
	s_wait_loadcnt 0x0
	v_dual_mov_b32 v63, v82 :: v_dual_mov_b32 v62, v14
.LBB0_135:                              ;   in Loop: Header=BB0_28 Depth=1
	s_or_b32 exec_lo, exec_lo, s9
.LBB0_136:                              ;   in Loop: Header=BB0_28 Depth=1
	s_delay_alu instid0(SALU_CYCLE_1)
	s_or_b32 exec_lo, exec_lo, s8
.LBB0_137:                              ;   in Loop: Header=BB0_28 Depth=1
	s_and_not1_saveexec_b32 s8, s17
	s_cbranch_execz .LBB0_139
; %bb.138:                              ;   in Loop: Header=BB0_28 Depth=1
	s_wait_loadcnt 0x0
	v_dual_mov_b32 v63, v23 :: v_dual_mov_b32 v62, v22
.LBB0_139:                              ;   in Loop: Header=BB0_28 Depth=1
	s_or_b32 exec_lo, exec_lo, s8
                                        ; implicit-def: $vgpr6
.LBB0_140:                              ;   in Loop: Header=BB0_28 Depth=1
	s_and_not1_saveexec_b32 s9, s16
	s_cbranch_execz .LBB0_154
; %bb.141:                              ;   in Loop: Header=BB0_28 Depth=1
	s_mov_b32 s8, exec_lo
	v_cmpx_lt_i32_e32 26, v6
	s_xor_b32 s8, exec_lo, s8
; %bb.142:                              ;   in Loop: Header=BB0_28 Depth=1
                                        ; implicit-def: $vgpr63
                                        ; implicit-def: $vgpr6
; %bb.143:                              ;   in Loop: Header=BB0_28 Depth=1
	s_delay_alu instid0(SALU_CYCLE_1)
	s_or_saveexec_b32 s16, s8
	v_dual_mov_b32 v64, v24 :: v_dual_mov_b32 v65, v25
	s_xor_b32 exec_lo, exec_lo, s16
	s_cbranch_execz .LBB0_153
; %bb.144:                              ;   in Loop: Header=BB0_28 Depth=1
	s_mov_b32 s17, exec_lo
	v_cmpx_eq_u32_e32 22, v6
	s_cbranch_execz .LBB0_152
; %bb.145:                              ;   in Loop: Header=BB0_28 Depth=1
	v_mov_b32_e32 v6, v58
	s_and_saveexec_b32 s8, s13
	s_cbranch_execz .LBB0_151
; %bb.146:                              ;   in Loop: Header=BB0_28 Depth=1
	s_wait_loadcnt 0x0
	v_dual_mov_b32 v62, v87 :: v_dual_mov_b32 v6, v90
	s_and_saveexec_b32 s18, s0
	s_cbranch_execz .LBB0_150
; %bb.147:                              ;   in Loop: Header=BB0_28 Depth=1
	v_dual_mov_b32 v62, v87 :: v_dual_mov_b32 v6, v90
	s_mov_b32 s19, 0
.LBB0_148:                              ;   Parent Loop BB0_28 Depth=1
                                        ; =>  This Inner Loop Header: Depth=2
	s_delay_alu instid0(VALU_DEP_1) | instskip(NEXT) | instid1(VALU_DEP_1)
	v_mul_f32_e32 v5, v91, v62
	v_rndne_f32_e32 v5, v5
	s_delay_alu instid0(VALU_DEP_1) | instskip(NEXT) | instid1(VALU_DEP_1)
	v_fma_f32 v5, -v5, v89, v62
	v_add_f32_e32 v10, v89, v5
	v_cmp_gt_f32_e32 vcc_lo, 0, v5
	s_delay_alu instid0(VALU_DEP_2) | instskip(SKIP_2) | instid1(VALU_DEP_3)
	v_cndmask_b32_e32 v5, v5, v10, vcc_lo
	v_cmp_gt_u32_e32 vcc_lo, 25, v6
	v_add_nc_u32_e32 v6, -12, v6
	v_ldexp_f32 v62, v5, 12
	s_or_b32 s19, vcc_lo, s19
	s_delay_alu instid0(SALU_CYCLE_1)
	s_and_not1_b32 exec_lo, exec_lo, s19
	s_cbranch_execnz .LBB0_148
; %bb.149:                              ;   in Loop: Header=BB0_28 Depth=1
	s_or_b32 exec_lo, exec_lo, s19
.LBB0_150:                              ;   in Loop: Header=BB0_28 Depth=1
	s_delay_alu instid0(SALU_CYCLE_1) | instskip(NEXT) | instid1(VALU_DEP_1)
	s_or_b32 exec_lo, exec_lo, s18
	v_add_nc_u32_e32 v5, -11, v6
	s_delay_alu instid0(VALU_DEP_1) | instskip(NEXT) | instid1(VALU_DEP_1)
	v_ldexp_f32 v5, v62, v5
	v_mul_f32_e32 v6, v91, v5
	s_delay_alu instid0(VALU_DEP_1) | instskip(NEXT) | instid1(VALU_DEP_1)
	v_rndne_f32_e32 v6, v6
	v_fma_f32 v5, -v6, v89, v5
	s_delay_alu instid0(VALU_DEP_1) | instskip(SKIP_1) | instid1(VALU_DEP_2)
	v_add_f32_e32 v6, v89, v5
	v_cmp_gt_f32_e32 vcc_lo, 0, v5
	v_cndmask_b32_e32 v5, v5, v6, vcc_lo
	s_delay_alu instid0(VALU_DEP_1) | instskip(NEXT) | instid1(VALU_DEP_1)
	v_ldexp_f32 v5, v5, v88
	v_xor_b32_e32 v6, v92, v5
.LBB0_151:                              ;   in Loop: Header=BB0_28 Depth=1
	s_or_b32 exec_lo, exec_lo, s8
	s_delay_alu instid0(VALU_DEP_1) | instskip(SKIP_1) | instid1(VALU_DEP_2)
	v_cndmask_b32_e64 v5, v6, 0x7fc00000, s1
	v_cndmask_b32_e64 v6, 0, 1, s3
	;; [unrolled: 1-line block ×3, first 2 shown]
	s_delay_alu instid0(VALU_DEP_1)
	v_cmp_gt_f32_e32 vcc_lo, v5, v93
	v_cndmask_b32_e64 v5, 0, 1, s4
	v_dual_cndmask_b32 v11, v71, v106, vcc_lo :: v_dual_cndmask_b32 v13, v60, v104, vcc_lo
	v_dual_cndmask_b32 v10, v103, v107, vcc_lo :: v_dual_cndmask_b32 v12, v70, v105, vcc_lo
	s_wait_loadcnt 0x0
	v_dual_cndmask_b32 v62, v94, v19 :: v_dual_cndmask_b32 v63, v95, v72
	v_cndmask_b32_e32 v5, v6, v5, vcc_lo
	v_cmp_eq_u32_e64 s8, 0, v11
	s_delay_alu instid0(VALU_DEP_3) | instskip(NEXT) | instid1(VALU_DEP_3)
	v_dual_cndmask_b32 v11, v29, v108, vcc_lo :: v_dual_bitop2_b32 v10, v10, v62 bitop3:0x14
	v_and_b32_e32 v5, 1, v5
	s_delay_alu instid0(VALU_DEP_3) | instskip(NEXT) | instid1(VALU_DEP_2)
	v_cndmask_b32_e64 v6, v12, v13, s8
	v_cmp_eq_u32_e64 s8, 1, v5
	s_delay_alu instid0(VALU_DEP_2) | instskip(NEXT) | instid1(VALU_DEP_1)
	v_xor3_b32 v6, v10, v63, v6
	v_cndmask_b32_e64 v10, 0x7fc00000, v6, s8
	s_delay_alu instid0(VALU_DEP_1)
	v_pk_mul_f32 v[62:63], v[16:17], v[10:11]
.LBB0_152:                              ;   in Loop: Header=BB0_28 Depth=1
	s_or_b32 exec_lo, exec_lo, s17
	s_wait_loadcnt 0x0
	s_delay_alu instid0(VALU_DEP_1)
	v_dual_mov_b32 v64, v63 :: v_dual_mov_b32 v65, v62
.LBB0_153:                              ;   in Loop: Header=BB0_28 Depth=1
	s_or_b32 exec_lo, exec_lo, s16
	s_wait_loadcnt 0x0
	s_delay_alu instid0(VALU_DEP_1)
	v_dual_mov_b32 v63, v64 :: v_dual_mov_b32 v62, v65
.LBB0_154:                              ;   in Loop: Header=BB0_28 Depth=1
	s_or_b32 exec_lo, exec_lo, s9
                                        ; implicit-def: $vgpr6
.LBB0_155:                              ;   in Loop: Header=BB0_28 Depth=1
	s_and_not1_saveexec_b32 s8, s15
	s_cbranch_execz .LBB0_173
; %bb.156:                              ;   in Loop: Header=BB0_28 Depth=1
	s_mov_b32 s9, exec_lo
                                        ; implicit-def: $vgpr63
	v_cmpx_lt_i32_e32 19, v6
	s_xor_b32 s9, exec_lo, s9
	s_cbranch_execz .LBB0_168
; %bb.157:                              ;   in Loop: Header=BB0_28 Depth=1
	s_mov_b32 s15, exec_lo
                                        ; implicit-def: $vgpr63
	v_cmpx_lt_i32_e32 20, v6
	s_xor_b32 s15, exec_lo, s15
	s_cbranch_execz .LBB0_165
; %bb.158:                              ;   in Loop: Header=BB0_28 Depth=1
	v_mov_b32_e32 v6, v73
	s_and_saveexec_b32 s16, s14
	s_cbranch_execz .LBB0_164
; %bb.159:                              ;   in Loop: Header=BB0_28 Depth=1
	s_wait_loadcnt 0x0
	v_dual_mov_b32 v62, v96 :: v_dual_mov_b32 v6, v99
	s_and_saveexec_b32 s17, s5
	s_cbranch_execz .LBB0_163
; %bb.160:                              ;   in Loop: Header=BB0_28 Depth=1
	v_dual_mov_b32 v62, v96 :: v_dual_mov_b32 v6, v99
	s_mov_b32 s18, 0
.LBB0_161:                              ;   Parent Loop BB0_28 Depth=1
                                        ; =>  This Inner Loop Header: Depth=2
	s_delay_alu instid0(VALU_DEP_1) | instskip(NEXT) | instid1(VALU_DEP_1)
	v_mul_f32_e32 v5, v100, v62
	v_rndne_f32_e32 v5, v5
	s_delay_alu instid0(VALU_DEP_1) | instskip(NEXT) | instid1(VALU_DEP_1)
	v_fma_f32 v5, -v5, v98, v62
	v_add_f32_e32 v10, v98, v5
	v_cmp_gt_f32_e32 vcc_lo, 0, v5
	s_delay_alu instid0(VALU_DEP_2) | instskip(SKIP_2) | instid1(VALU_DEP_3)
	v_cndmask_b32_e32 v5, v5, v10, vcc_lo
	v_cmp_gt_u32_e32 vcc_lo, 25, v6
	v_add_nc_u32_e32 v6, -12, v6
	v_ldexp_f32 v62, v5, 12
	s_or_b32 s18, vcc_lo, s18
	s_delay_alu instid0(SALU_CYCLE_1)
	s_and_not1_b32 exec_lo, exec_lo, s18
	s_cbranch_execnz .LBB0_161
; %bb.162:                              ;   in Loop: Header=BB0_28 Depth=1
	s_or_b32 exec_lo, exec_lo, s18
.LBB0_163:                              ;   in Loop: Header=BB0_28 Depth=1
	s_delay_alu instid0(SALU_CYCLE_1) | instskip(NEXT) | instid1(VALU_DEP_1)
	s_or_b32 exec_lo, exec_lo, s17
	v_add_nc_u32_e32 v5, -11, v6
	s_delay_alu instid0(VALU_DEP_1) | instskip(NEXT) | instid1(VALU_DEP_1)
	v_ldexp_f32 v5, v62, v5
	v_mul_f32_e32 v6, v100, v5
	s_delay_alu instid0(VALU_DEP_1) | instskip(NEXT) | instid1(VALU_DEP_1)
	v_rndne_f32_e32 v6, v6
	v_fma_f32 v5, -v6, v98, v5
	s_delay_alu instid0(VALU_DEP_1) | instskip(SKIP_1) | instid1(VALU_DEP_2)
	v_add_f32_e32 v6, v98, v5
	v_cmp_gt_f32_e32 vcc_lo, 0, v5
	v_cndmask_b32_e32 v5, v5, v6, vcc_lo
	s_delay_alu instid0(VALU_DEP_1) | instskip(NEXT) | instid1(VALU_DEP_1)
	v_ldexp_f32 v5, v5, v97
	v_xor_b32_e32 v6, v101, v5
.LBB0_164:                              ;   in Loop: Header=BB0_28 Depth=1
	s_or_b32 exec_lo, exec_lo, s16
	s_delay_alu instid0(VALU_DEP_1) | instskip(NEXT) | instid1(VALU_DEP_1)
	v_cndmask_b32_e64 v5, v6, 0x7fc00000, s6
	v_cndmask_b32_e64 v5, 0x7fc00000, v5, s7
	s_delay_alu instid0(VALU_DEP_1) | instskip(NEXT) | instid1(VALU_DEP_1)
	v_sub_f32_e32 v5, v5, v61
	v_add_f32_e32 v6, v102, v5
	s_wait_loadcnt 0x0
	s_delay_alu instid0(VALU_DEP_1)
	v_pk_mul_f32 v[62:63], v[42:43], v[6:7] op_sel_hi:[1,0]
.LBB0_165:                              ;   in Loop: Header=BB0_28 Depth=1
	s_and_not1_saveexec_b32 s15, s15
	s_cbranch_execz .LBB0_167
; %bb.166:                              ;   in Loop: Header=BB0_28 Depth=1
	s_wait_loadcnt 0x0
	v_dual_mov_b32 v63, v35 :: v_dual_mov_b32 v62, v34
.LBB0_167:                              ;   in Loop: Header=BB0_28 Depth=1
	s_or_b32 exec_lo, exec_lo, s15
                                        ; implicit-def: $vgpr6
.LBB0_168:                              ;   in Loop: Header=BB0_28 Depth=1
	s_and_not1_saveexec_b32 s9, s9
	s_cbranch_execz .LBB0_172
; %bb.169:                              ;   in Loop: Header=BB0_28 Depth=1
	s_mov_b32 s15, exec_lo
	v_cmpx_lt_i32_e32 18, v6
	s_xor_b32 s15, exec_lo, s15
	s_delay_alu instid0(SALU_CYCLE_1)
	s_or_saveexec_b32 s15, s15
	s_wait_loadcnt 0x0
	v_dual_mov_b32 v63, v37 :: v_dual_mov_b32 v62, v36
	s_xor_b32 exec_lo, exec_lo, s15
; %bb.170:                              ;   in Loop: Header=BB0_28 Depth=1
	v_dual_mov_b32 v63, v39 :: v_dual_mov_b32 v62, v38
; %bb.171:                              ;   in Loop: Header=BB0_28 Depth=1
	s_or_b32 exec_lo, exec_lo, s15
.LBB0_172:                              ;   in Loop: Header=BB0_28 Depth=1
	s_delay_alu instid0(SALU_CYCLE_1)
	s_or_b32 exec_lo, exec_lo, s9
.LBB0_173:                              ;   in Loop: Header=BB0_28 Depth=1
	s_delay_alu instid0(SALU_CYCLE_1)
	s_or_b32 exec_lo, exec_lo, s8
.LBB0_174:                              ;   in Loop: Header=BB0_28 Depth=1
	s_delay_alu instid0(SALU_CYCLE_1)
	s_or_b32 exec_lo, exec_lo, s12
                                        ; implicit-def: $vgpr6
.LBB0_175:                              ;   in Loop: Header=BB0_28 Depth=1
	s_and_not1_saveexec_b32 s11, s11
	s_cbranch_execz .LBB0_26
; %bb.176:                              ;   in Loop: Header=BB0_28 Depth=1
                                        ; implicit-def: $vgpr64
                                        ; implicit-def: $vgpr65
	s_mov_b32 s8, exec_lo
	v_cmpx_lt_i32_e32 8, v6
	s_xor_b32 s12, exec_lo, s8
	s_cbranch_execz .LBB0_220
; %bb.177:                              ;   in Loop: Header=BB0_28 Depth=1
                                        ; implicit-def: $vgpr64
                                        ; implicit-def: $vgpr65
	s_mov_b32 s8, exec_lo
	v_cmpx_lt_i32_e32 12, v6
	s_xor_b32 s15, exec_lo, s8
	s_cbranch_execz .LBB0_209
; %bb.178:                              ;   in Loop: Header=BB0_28 Depth=1
	s_mov_b32 s8, exec_lo
                                        ; implicit-def: $vgpr64
                                        ; implicit-def: $vgpr65
	v_cmpx_lt_i32_e32 14, v6
	s_xor_b32 s8, exec_lo, s8
	s_cbranch_execz .LBB0_186
; %bb.179:                              ;   in Loop: Header=BB0_28 Depth=1
	s_mov_b32 s9, exec_lo
                                        ; implicit-def: $vgpr64
                                        ; implicit-def: $vgpr65
	v_cmpx_lt_i32_e32 15, v6
	s_xor_b32 s9, exec_lo, s9
	s_cbranch_execz .LBB0_183
; %bb.180:                              ;   in Loop: Header=BB0_28 Depth=1
	s_mov_b32 s16, exec_lo
	v_cmpx_lt_i32_e32 16, v6
	s_xor_b32 s16, exec_lo, s16
	s_delay_alu instid0(SALU_CYCLE_1)
	s_or_saveexec_b32 s16, s16
	v_dual_mov_b32 v64, v3 :: v_dual_mov_b32 v65, v2
	s_xor_b32 exec_lo, exec_lo, s16
; %bb.181:                              ;   in Loop: Header=BB0_28 Depth=1
	v_dual_mov_b32 v64, v25 :: v_dual_mov_b32 v65, v24
; %bb.182:                              ;   in Loop: Header=BB0_28 Depth=1
	s_or_b32 exec_lo, exec_lo, s16
.LBB0_183:                              ;   in Loop: Header=BB0_28 Depth=1
	s_and_not1_saveexec_b32 s9, s9
; %bb.184:                              ;   in Loop: Header=BB0_28 Depth=1
	v_dual_mov_b32 v64, v41 :: v_dual_mov_b32 v65, v40
; %bb.185:                              ;   in Loop: Header=BB0_28 Depth=1
	s_or_b32 exec_lo, exec_lo, s9
                                        ; implicit-def: $vgpr6
.LBB0_186:                              ;   in Loop: Header=BB0_28 Depth=1
	s_and_not1_saveexec_b32 s16, s8
	s_cbranch_execz .LBB0_208
; %bb.187:                              ;   in Loop: Header=BB0_28 Depth=1
	s_mov_b32 s8, exec_lo
                                        ; implicit-def: $vgpr64
                                        ; implicit-def: $vgpr65
	v_cmpx_lt_i32_e32 13, v6
	s_xor_b32 s8, exec_lo, s8
	s_cbranch_execz .LBB0_197
; %bb.188:                              ;   in Loop: Header=BB0_28 Depth=1
	s_mov_b32 s9, exec_lo
                                        ; implicit-def: $vgpr65
	v_cmpx_lt_i32_e32 1, v20
	s_xor_b32 s9, exec_lo, s9
	s_cbranch_execz .LBB0_192
; %bb.189:                              ;   in Loop: Header=BB0_28 Depth=1
	v_mov_b32_e32 v65, v14
	s_mov_b32 s17, exec_lo
	v_cmpx_gt_i32_e32 3, v20
; %bb.190:                              ;   in Loop: Header=BB0_28 Depth=1
	v_mov_b32_e32 v65, v26
; %bb.191:                              ;   in Loop: Header=BB0_28 Depth=1
	s_or_b32 exec_lo, exec_lo, s17
.LBB0_192:                              ;   in Loop: Header=BB0_28 Depth=1
	s_or_saveexec_b32 s9, s9
	v_mov_b32_e32 v64, v15
	s_xor_b32 exec_lo, exec_lo, s9
	s_cbranch_execz .LBB0_196
; %bb.193:                              ;   in Loop: Header=BB0_28 Depth=1
	s_mov_b32 s17, exec_lo
	v_cmpx_ne_u32_e32 1, v20
	s_xor_b32 s17, exec_lo, s17
	s_delay_alu instid0(SALU_CYCLE_1)
	s_or_saveexec_b32 s17, s17
	v_dual_mov_b32 v64, v27 :: v_dual_mov_b32 v65, v26
	s_xor_b32 exec_lo, exec_lo, s17
; %bb.194:                              ;   in Loop: Header=BB0_28 Depth=1
	v_dual_mov_b32 v64, v28 :: v_dual_mov_b32 v65, v14
; %bb.195:                              ;   in Loop: Header=BB0_28 Depth=1
	s_or_b32 exec_lo, exec_lo, s17
.LBB0_196:                              ;   in Loop: Header=BB0_28 Depth=1
	s_delay_alu instid0(SALU_CYCLE_1)
	s_or_b32 exec_lo, exec_lo, s9
.LBB0_197:                              ;   in Loop: Header=BB0_28 Depth=1
	s_and_not1_saveexec_b32 s17, s8
	s_cbranch_execz .LBB0_207
; %bb.198:                              ;   in Loop: Header=BB0_28 Depth=1
	global_load_b32 v5, v[118:119], off
	scratch_load_b32 v6, off, off offset:24 ; 4-byte Folded Reload
                                        ; implicit-def: $vgpr65
                                        ; implicit-def: $vgpr64
	s_wait_loadcnt 0x1
	v_cmp_lt_f32_e32 vcc_lo, 0.5, v5
	v_cndmask_b32_e64 v5, 0x40490fdb, 0, vcc_lo
	s_wait_loadcnt 0x0
	s_delay_alu instid0(VALU_DEP_1) | instskip(NEXT) | instid1(VALU_DEP_1)
	v_add_f32_e32 v62, v6, v5
	v_and_b32_e32 v63, 0x7fffffff, v62
	s_delay_alu instid0(VALU_DEP_1) | instskip(SKIP_2) | instid1(VALU_DEP_3)
	v_lshrrev_b32_e32 v5, 23, v63
	v_cmp_ngt_f32_e64 s18, 0x48000000, |v62|
	v_and_or_b32 v74, v63, s33, 0x800000
	v_add_nc_u32_e32 v66, 0xffffff88, v5
	s_wait_xcnt 0x0
	s_and_saveexec_b32 s8, s18
	s_delay_alu instid0(SALU_CYCLE_1)
	s_xor_b32 s19, exec_lo, s8
	s_cbranch_execz .LBB0_200
; %bb.199:                              ;   in Loop: Header=BB0_28 Depth=1
	v_mul_u64_e32 v[10:11], s[34:35], v[74:75]
	v_mov_b32_e32 v13, v75
	v_cmp_lt_u32_e32 vcc_lo, 63, v66
	v_mov_b32_e32 v111, v75
	v_cndmask_b32_e64 v5, 0, 0xffffffc0, vcc_lo
	s_delay_alu instid0(VALU_DEP_1) | instskip(NEXT) | instid1(VALU_DEP_1)
	v_add_nc_u32_e32 v5, v5, v66
	v_cmp_lt_u32_e64 s8, 31, v5
	s_delay_alu instid0(VALU_DEP_1) | instskip(NEXT) | instid1(VALU_DEP_1)
	v_cndmask_b32_e64 v6, 0, 0xffffffe0, s8
	v_dual_mov_b32 v12, v11 :: v_dual_add_nc_u32 v5, v6, v5
	s_delay_alu instid0(VALU_DEP_1) | instskip(NEXT) | instid1(VALU_DEP_2)
	v_cmp_lt_u32_e64 s9, 31, v5
	v_mad_nc_u64_u32 v[12:13], 0x3c439041, v74, v[12:13]
	v_mov_b32_e32 v65, v75
	s_delay_alu instid0(VALU_DEP_3) | instskip(NEXT) | instid1(VALU_DEP_1)
	v_cndmask_b32_e64 v6, 0, 0xffffffe0, s9
	v_dual_mov_b32 v64, v13 :: v_dual_add_nc_u32 v5, v6, v5
	s_delay_alu instid0(VALU_DEP_1) | instskip(NEXT) | instid1(VALU_DEP_1)
	v_mad_nc_u64_u32 v[64:65], 0xdb629599, v74, v[64:65]
	v_dual_mov_b32 v69, v75 :: v_dual_mov_b32 v68, v65
	s_delay_alu instid0(VALU_DEP_2) | instskip(NEXT) | instid1(VALU_DEP_2)
	v_cndmask_b32_e32 v10, v64, v10, vcc_lo
	v_mad_nc_u64_u32 v[68:69], 0xf534ddc0, v74, v[68:69]
	s_delay_alu instid0(VALU_DEP_1) | instskip(NEXT) | instid1(VALU_DEP_1)
	v_dual_mov_b32 v77, v75 :: v_dual_mov_b32 v76, v69
	v_mad_nc_u64_u32 v[76:77], 0xfc2757d1, v74, v[76:77]
	s_delay_alu instid0(VALU_DEP_1) | instskip(NEXT) | instid1(VALU_DEP_2)
	v_dual_mov_b32 v79, v75 :: v_dual_mov_b32 v78, v77
	v_cndmask_b32_e32 v67, v76, v64, vcc_lo
	s_delay_alu instid0(VALU_DEP_2) | instskip(NEXT) | instid1(VALU_DEP_1)
	v_mad_nc_u64_u32 v[78:79], 0x4e441529, v74, v[78:79]
	v_mov_b32_e32 v110, v79
	s_delay_alu instid0(VALU_DEP_1) | instskip(NEXT) | instid1(VALU_DEP_1)
	v_mad_nc_u64_u32 v[110:111], 0xa2f9836e, v74, v[110:111]
	v_dual_cndmask_b32 v11, v78, v68, vcc_lo :: v_dual_cndmask_b32 v65, v111, v78, vcc_lo
	s_delay_alu instid0(VALU_DEP_2) | instskip(SKIP_2) | instid1(VALU_DEP_3)
	v_cndmask_b32_e32 v13, v110, v76, vcc_lo
	v_cndmask_b32_e32 v6, v68, v12, vcc_lo
	v_cmp_eq_u32_e32 vcc_lo, 0, v5
	v_cndmask_b32_e64 v12, v13, v11, s8
	v_dual_cndmask_b32 v11, v11, v67, s8 :: v_dual_cndmask_b32 v13, v65, v13, s8
	s_delay_alu instid0(VALU_DEP_4) | instskip(NEXT) | instid1(VALU_DEP_2)
	v_dual_cndmask_b32 v67, v67, v6, s8 :: v_dual_sub_nc_u32 v65, 32, v5
	v_dual_cndmask_b32 v6, v6, v10, s8 :: v_dual_cndmask_b32 v13, v13, v12, s9
	s_delay_alu instid0(VALU_DEP_1) | instskip(NEXT) | instid1(VALU_DEP_1)
	v_dual_cndmask_b32 v12, v12, v11, s9 :: v_dual_cndmask_b32 v6, v67, v6, s9
	v_alignbit_b32 v68, v13, v12, v65
	s_delay_alu instid0(VALU_DEP_1) | instskip(NEXT) | instid1(VALU_DEP_1)
	v_dual_cndmask_b32 v11, v11, v67, s9 :: v_dual_cndmask_b32 v5, v68, v13, vcc_lo
	v_alignbit_b32 v64, v12, v11, v65
	s_delay_alu instid0(VALU_DEP_4) | instskip(NEXT) | instid1(VALU_DEP_2)
	v_alignbit_b32 v65, v11, v6, v65
	v_cndmask_b32_e32 v10, v64, v12, vcc_lo
	s_delay_alu instid0(VALU_DEP_4) | instskip(NEXT) | instid1(VALU_DEP_2)
	v_bfe_u32 v12, v5, 29, 1
	v_alignbit_b32 v13, v5, v10, 30
	s_delay_alu instid0(VALU_DEP_2) | instskip(NEXT) | instid1(VALU_DEP_1)
	v_dual_cndmask_b32 v11, v65, v11 :: v_dual_sub_nc_u32 v64, 0, v12
	v_xor_b32_e32 v13, v13, v64
	s_delay_alu instid0(VALU_DEP_2) | instskip(NEXT) | instid1(VALU_DEP_2)
	v_alignbit_b32 v10, v10, v11, 30
	v_clz_i32_u32_e32 v65, v13
	s_delay_alu instid0(VALU_DEP_2) | instskip(SKIP_1) | instid1(VALU_DEP_3)
	v_xor_b32_e32 v10, v10, v64
	v_alignbit_b32 v6, v11, v6, 30
	v_min_u32_e32 v65, 32, v65
	s_delay_alu instid0(VALU_DEP_2) | instskip(SKIP_1) | instid1(VALU_DEP_3)
	v_dual_lshrrev_b32 v64, 29, v5 :: v_dual_bitop2_b32 v6, v6, v64 bitop3:0x14
	v_lshrrev_b32_e32 v5, 30, v5
	v_dual_sub_nc_u32 v11, 31, v65 :: v_dual_lshlrev_b32 v67, 23, v65
	s_delay_alu instid0(VALU_DEP_1) | instskip(NEXT) | instid1(VALU_DEP_4)
	v_alignbit_b32 v13, v13, v10, v11
	v_alignbit_b32 v6, v10, v6, v11
	v_lshlrev_b32_e32 v10, 31, v64
	s_delay_alu instid0(VALU_DEP_2) | instskip(NEXT) | instid1(VALU_DEP_2)
	v_alignbit_b32 v11, v13, v6, 9
	v_dual_lshrrev_b32 v13, 9, v13 :: v_dual_bitop2_b32 v64, 0.5, v10 bitop3:0x54
	v_or_b32_e32 v10, 0x33000000, v10
	s_delay_alu instid0(VALU_DEP_3) | instskip(NEXT) | instid1(VALU_DEP_3)
	v_clz_i32_u32_e32 v68, v11
	v_sub_nc_u32_e32 v64, v64, v67
	s_delay_alu instid0(VALU_DEP_2) | instskip(NEXT) | instid1(VALU_DEP_1)
	v_min_u32_e32 v67, 32, v68
	v_add_lshl_u32 v65, v67, v65, 23
	s_delay_alu instid0(VALU_DEP_1) | instskip(SKIP_2) | instid1(VALU_DEP_2)
	v_dual_sub_nc_u32 v10, v10, v65 :: v_dual_bitop2_b32 v13, v13, v64 bitop3:0x54
	v_not_b32_e32 v64, v67
	v_add_nc_u32_e32 v65, v12, v5
	v_alignbit_b32 v6, v11, v6, v64
	s_delay_alu instid0(VALU_DEP_1) | instskip(NEXT) | instid1(VALU_DEP_1)
	v_lshrrev_b32_e32 v6, 9, v6
	v_or_b32_e32 v6, v10, v6
	v_mul_f32_e32 v68, 0x3fc90fda, v13
	s_delay_alu instid0(VALU_DEP_1) | instskip(NEXT) | instid1(VALU_DEP_1)
	v_fma_f32 v11, 0x3fc90fda, v13, -v68
	v_fmac_f32_e32 v11, 0x33a22168, v13
	s_delay_alu instid0(VALU_DEP_1) | instskip(NEXT) | instid1(VALU_DEP_1)
	v_fmac_f32_e32 v11, 0x3fc90fda, v6
	v_add_f32_e32 v64, v68, v11
.LBB0_200:                              ;   in Loop: Header=BB0_28 Depth=1
	s_or_saveexec_b32 s8, s19
	v_mul_f32_e64 v5, 0x3f22f983, |v62|
	s_delay_alu instid0(VALU_DEP_1)
	v_rndne_f32_e32 v69, v5
	s_xor_b32 exec_lo, exec_lo, s8
; %bb.201:                              ;   in Loop: Header=BB0_28 Depth=1
	s_delay_alu instid0(VALU_DEP_1) | instskip(SKIP_1) | instid1(VALU_DEP_2)
	v_fma_f32 v64, 0xbfc90fda, v69, |v62|
	v_cvt_i32_f32_e32 v65, v69
	v_fmac_f32_e32 v64, 0xb3a22168, v69
	s_delay_alu instid0(VALU_DEP_1)
	v_fmac_f32_e32 v64, 0xa7c234c4, v69
; %bb.202:                              ;   in Loop: Header=BB0_28 Depth=1
	s_or_b32 exec_lo, exec_lo, s8
                                        ; implicit-def: $vgpr68
                                        ; implicit-def: $vgpr67
	s_and_saveexec_b32 s8, s18
	s_delay_alu instid0(SALU_CYCLE_1)
	s_xor_b32 s18, exec_lo, s8
	s_cbranch_execz .LBB0_204
; %bb.203:                              ;   in Loop: Header=BB0_28 Depth=1
	v_mul_u64_e32 v[10:11], s[34:35], v[74:75]
	v_mov_b32_e32 v13, v75
	v_cmp_lt_u32_e32 vcc_lo, 63, v66
	v_mov_b32_e32 v67, v75
	v_cndmask_b32_e64 v5, 0, 0xffffffc0, vcc_lo
	s_delay_alu instid0(VALU_DEP_1) | instskip(NEXT) | instid1(VALU_DEP_1)
	v_add_nc_u32_e32 v5, v5, v66
	v_cmp_lt_u32_e64 s8, 31, v5
	s_delay_alu instid0(VALU_DEP_1) | instskip(NEXT) | instid1(VALU_DEP_1)
	v_cndmask_b32_e64 v6, 0, 0xffffffe0, s8
	v_dual_mov_b32 v12, v11 :: v_dual_add_nc_u32 v5, v6, v5
	s_delay_alu instid0(VALU_DEP_1) | instskip(NEXT) | instid1(VALU_DEP_2)
	v_cmp_lt_u32_e64 s9, 31, v5
	v_mad_nc_u64_u32 v[12:13], 0x3c439041, v74, v[12:13]
	v_mov_b32_e32 v69, v75
	s_delay_alu instid0(VALU_DEP_3) | instskip(NEXT) | instid1(VALU_DEP_3)
	v_cndmask_b32_e64 v6, 0, 0xffffffe0, s9
	v_mov_b32_e32 v68, v13
	s_delay_alu instid0(VALU_DEP_1) | instskip(NEXT) | instid1(VALU_DEP_1)
	v_mad_nc_u64_u32 v[68:69], 0xdb629599, v74, v[68:69]
	v_dual_mov_b32 v77, v75 :: v_dual_mov_b32 v76, v69
	s_delay_alu instid0(VALU_DEP_2) | instskip(NEXT) | instid1(VALU_DEP_2)
	v_cndmask_b32_e32 v10, v68, v10, vcc_lo
	v_mad_nc_u64_u32 v[76:77], 0xf534ddc0, v74, v[76:77]
	s_delay_alu instid0(VALU_DEP_1) | instskip(NEXT) | instid1(VALU_DEP_1)
	v_dual_mov_b32 v79, v75 :: v_dual_mov_b32 v78, v77
	v_mad_nc_u64_u32 v[78:79], 0xfc2757d1, v74, v[78:79]
	s_delay_alu instid0(VALU_DEP_1) | instskip(NEXT) | instid1(VALU_DEP_1)
	v_dual_mov_b32 v111, v75 :: v_dual_mov_b32 v110, v79
	v_mad_nc_u64_u32 v[110:111], 0x4e441529, v74, v[110:111]
	s_delay_alu instid0(VALU_DEP_1) | instskip(NEXT) | instid1(VALU_DEP_1)
	v_mov_b32_e32 v66, v111
	v_mad_nc_u64_u32 v[66:67], 0xa2f9836e, v74, v[66:67]
	s_delay_alu instid0(VALU_DEP_3) | instskip(NEXT) | instid1(VALU_DEP_2)
	v_cndmask_b32_e32 v11, v110, v76, vcc_lo
	v_cndmask_b32_e32 v13, v66, v78, vcc_lo
	s_delay_alu instid0(VALU_DEP_3) | instskip(SKIP_1) | instid1(VALU_DEP_2)
	v_dual_cndmask_b32 v66, v67, v110 :: v_dual_cndmask_b32 v67, v78, v68
	v_dual_cndmask_b32 v6, v76, v12 :: v_dual_add_nc_u32 v5, v6, v5
	v_dual_cndmask_b32 v12, v13, v11, s8 :: v_dual_cndmask_b32 v13, v66, v13, s8
	s_delay_alu instid0(VALU_DEP_3) | instskip(NEXT) | instid1(VALU_DEP_3)
	v_cndmask_b32_e64 v11, v11, v67, s8
	v_cmp_eq_u32_e32 vcc_lo, 0, v5
	s_delay_alu instid0(VALU_DEP_4) | instskip(NEXT) | instid1(VALU_DEP_3)
	v_dual_cndmask_b32 v67, v67, v6, s8 :: v_dual_sub_nc_u32 v66, 32, v5
	v_dual_cndmask_b32 v13, v13, v12, s9 :: v_dual_cndmask_b32 v12, v12, v11, s9
	s_delay_alu instid0(VALU_DEP_2) | instskip(NEXT) | instid1(VALU_DEP_2)
	v_dual_cndmask_b32 v6, v6, v10, s8 :: v_dual_cndmask_b32 v11, v11, v67, s9
	v_alignbit_b32 v69, v13, v12, v66
	s_delay_alu instid0(VALU_DEP_1) | instskip(NEXT) | instid1(VALU_DEP_3)
	v_dual_cndmask_b32 v6, v67, v6, s9 :: v_dual_cndmask_b32 v5, v69, v13, vcc_lo
	v_alignbit_b32 v68, v12, v11, v66
	s_delay_alu instid0(VALU_DEP_2) | instskip(NEXT) | instid1(VALU_DEP_2)
	v_alignbit_b32 v66, v11, v6, v66
	v_cndmask_b32_e32 v10, v68, v12, vcc_lo
	s_delay_alu instid0(VALU_DEP_4) | instskip(NEXT) | instid1(VALU_DEP_3)
	v_bfe_u32 v12, v5, 29, 1
	v_cndmask_b32_e32 v11, v66, v11, vcc_lo
	s_delay_alu instid0(VALU_DEP_3) | instskip(NEXT) | instid1(VALU_DEP_3)
	v_alignbit_b32 v13, v5, v10, 30
	v_sub_nc_u32_e32 v67, 0, v12
	s_delay_alu instid0(VALU_DEP_3) | instskip(SKIP_1) | instid1(VALU_DEP_3)
	v_alignbit_b32 v10, v10, v11, 30
	v_alignbit_b32 v6, v11, v6, 30
	v_xor_b32_e32 v13, v13, v67
	s_delay_alu instid0(VALU_DEP_2) | instskip(NEXT) | instid1(VALU_DEP_2)
	v_xor_b32_e32 v6, v6, v67
	v_clz_i32_u32_e32 v66, v13
	s_delay_alu instid0(VALU_DEP_1) | instskip(SKIP_1) | instid1(VALU_DEP_2)
	v_min_u32_e32 v66, 32, v66
	v_dual_lshrrev_b32 v67, 29, v5 :: v_dual_bitop2_b32 v10, v10, v67 bitop3:0x14
	v_dual_lshrrev_b32 v5, 30, v5 :: v_dual_sub_nc_u32 v11, 31, v66
	v_lshlrev_b32_e32 v68, 23, v66
	s_delay_alu instid0(VALU_DEP_2) | instskip(SKIP_2) | instid1(VALU_DEP_2)
	v_alignbit_b32 v13, v13, v10, v11
	v_alignbit_b32 v6, v10, v6, v11
	v_lshlrev_b32_e32 v10, 31, v67
	v_alignbit_b32 v11, v13, v6, 9
	s_delay_alu instid0(VALU_DEP_2) | instskip(SKIP_1) | instid1(VALU_DEP_3)
	v_dual_lshrrev_b32 v13, 9, v13 :: v_dual_bitop2_b32 v67, 0.5, v10 bitop3:0x54
	v_or_b32_e32 v10, 0x33000000, v10
	v_clz_i32_u32_e32 v69, v11
	s_delay_alu instid0(VALU_DEP_3) | instskip(NEXT) | instid1(VALU_DEP_2)
	v_sub_nc_u32_e32 v67, v67, v68
	v_min_u32_e32 v68, 32, v69
	s_delay_alu instid0(VALU_DEP_1) | instskip(NEXT) | instid1(VALU_DEP_1)
	v_add_lshl_u32 v66, v68, v66, 23
	v_dual_sub_nc_u32 v10, v10, v66 :: v_dual_bitop2_b32 v13, v13, v67 bitop3:0x54
	v_not_b32_e32 v67, v68
	v_add_nc_u32_e32 v68, v12, v5
	s_delay_alu instid0(VALU_DEP_2) | instskip(NEXT) | instid1(VALU_DEP_1)
	v_alignbit_b32 v6, v11, v6, v67
	v_dual_mul_f32 v69, 0x3fc90fda, v13 :: v_dual_lshrrev_b32 v6, 9, v6
	s_delay_alu instid0(VALU_DEP_1) | instskip(NEXT) | instid1(VALU_DEP_2)
	v_or_b32_e32 v6, v10, v6
	v_fma_f32 v11, 0x3fc90fda, v13, -v69
	s_delay_alu instid0(VALU_DEP_1) | instskip(NEXT) | instid1(VALU_DEP_1)
	v_fmac_f32_e32 v11, 0x33a22168, v13
	v_fmac_f32_e32 v11, 0x3fc90fda, v6
	s_delay_alu instid0(VALU_DEP_1)
	v_add_f32_e32 v67, v69, v11
                                        ; implicit-def: $vgpr69
	s_and_not1_saveexec_b32 s8, s18
	s_cbranch_execnz .LBB0_205
	s_branch .LBB0_206
.LBB0_204:                              ;   in Loop: Header=BB0_28 Depth=1
	s_and_not1_saveexec_b32 s8, s18
.LBB0_205:                              ;   in Loop: Header=BB0_28 Depth=1
	v_fma_f32 v67, 0xbfc90fda, v69, |v62|
	v_cvt_i32_f32_e32 v68, v69
	s_delay_alu instid0(VALU_DEP_2) | instskip(NEXT) | instid1(VALU_DEP_1)
	v_fmac_f32_e32 v67, 0xb3a22168, v69
	v_fmac_f32_e32 v67, 0xa7c234c4, v69
.LBB0_206:                              ;   in Loop: Header=BB0_28 Depth=1
	s_or_b32 exec_lo, exec_lo, s8
	s_delay_alu instid0(VALU_DEP_1) | instskip(SKIP_2) | instid1(VALU_DEP_3)
	v_dual_mul_f32 v5, v64, v64 :: v_dual_mul_f32 v6, v67, v67
	v_dual_lshlrev_b32 v11, 30, v65 :: v_dual_bitop2_b32 v10, 1, v65 bitop3:0x40
	v_dual_lshlrev_b32 v68, 30, v68 :: v_dual_bitop2_b32 v69, 1, v68 bitop3:0x40
	v_dual_fmaak_f32 v12, s36, v5, 0x3c0881c4 :: v_dual_fmaak_f32 v65, s36, v6, 0x3c0881c4
	v_dual_fmaak_f32 v13, s38, v5, 0xbab64f3b :: v_dual_fmaak_f32 v66, s38, v6, 0xbab64f3b
	s_delay_alu instid0(VALU_DEP_4) | instskip(NEXT) | instid1(VALU_DEP_3)
	v_cmp_eq_u32_e32 vcc_lo, 0, v10
	v_dual_fmaak_f32 v12, v5, v12, 0xbe2aaa9d :: v_dual_fmaak_f32 v65, v6, v65, 0xbe2aaa9d
	s_delay_alu instid0(VALU_DEP_3) | instskip(NEXT) | instid1(VALU_DEP_2)
	v_dual_fmaak_f32 v13, v5, v13, 0x3d2aabf7 :: v_dual_fmaak_f32 v66, v6, v66, 0x3d2aabf7
	v_dual_mul_f32 v12, v5, v12 :: v_dual_mul_f32 v65, v6, v65
	s_delay_alu instid0(VALU_DEP_2) | instskip(NEXT) | instid1(VALU_DEP_2)
	v_dual_fmaak_f32 v13, v5, v13, 0xbf000004 :: v_dual_fmaak_f32 v66, v6, v66, 0xbf000004
	v_dual_fmac_f32 v64, v64, v12 :: v_dual_bitop2_b32 v63, v63, v62 bitop3:0x14
	s_delay_alu instid0(VALU_DEP_3) | instskip(NEXT) | instid1(VALU_DEP_3)
	v_fmac_f32_e32 v67, v67, v65
	v_fma_f32 v5, v5, v13, 1.0
	s_delay_alu instid0(VALU_DEP_4) | instskip(SKIP_1) | instid1(VALU_DEP_3)
	v_fma_f32 v6, v6, v66, 1.0
	v_and_b32_e32 v12, 0x80000000, v68
	v_cndmask_b32_e64 v5, -v64, v5, vcc_lo
	v_cmp_eq_u32_e32 vcc_lo, 0, v69
	s_delay_alu instid0(VALU_DEP_4) | instskip(NEXT) | instid1(VALU_DEP_3)
	v_cndmask_b32_e32 v6, v6, v67, vcc_lo
	v_bitop3_b32 v5, v11, v5, 0x80000000 bitop3:0x6c
	v_cmp_class_f32_e64 vcc_lo, v62, 0x1f8
	s_delay_alu instid0(VALU_DEP_3) | instskip(NEXT) | instid1(VALU_DEP_3)
	v_xor3_b32 v6, v63, v12, v6
	v_cndmask_b32_e32 v5, 0x7fc00000, v5, vcc_lo
	s_delay_alu instid0(VALU_DEP_2) | instskip(NEXT) | instid1(VALU_DEP_1)
	v_cndmask_b32_e32 v6, 0x7fc00000, v6, vcc_lo
	v_dual_mul_f32 v64, v21, v5 :: v_dual_mul_f32 v65, v21, v6
.LBB0_207:                              ;   in Loop: Header=BB0_28 Depth=1
	s_or_b32 exec_lo, exec_lo, s17
.LBB0_208:                              ;   in Loop: Header=BB0_28 Depth=1
	s_delay_alu instid0(SALU_CYCLE_1)
	s_or_b32 exec_lo, exec_lo, s16
                                        ; implicit-def: $vgpr6
.LBB0_209:                              ;   in Loop: Header=BB0_28 Depth=1
	s_and_not1_saveexec_b32 s8, s15
	s_cbranch_execz .LBB0_219
; %bb.210:                              ;   in Loop: Header=BB0_28 Depth=1
	s_mov_b32 s9, exec_lo
                                        ; implicit-def: $vgpr64
                                        ; implicit-def: $vgpr65
	v_cmpx_lt_i32_e32 10, v6
	s_xor_b32 s9, exec_lo, s9
	s_cbranch_execz .LBB0_214
; %bb.211:                              ;   in Loop: Header=BB0_28 Depth=1
	s_mov_b32 s15, exec_lo
	v_cmpx_lt_i32_e32 11, v6
	s_xor_b32 s15, exec_lo, s15
	s_delay_alu instid0(SALU_CYCLE_1)
	s_or_saveexec_b32 s15, s15
	v_dual_mov_b32 v64, v47 :: v_dual_mov_b32 v65, v46
	s_xor_b32 exec_lo, exec_lo, s15
; %bb.212:                              ;   in Loop: Header=BB0_28 Depth=1
	v_dual_mov_b32 v64, v49 :: v_dual_mov_b32 v65, v48
; %bb.213:                              ;   in Loop: Header=BB0_28 Depth=1
	s_or_b32 exec_lo, exec_lo, s15
                                        ; implicit-def: $vgpr6
.LBB0_214:                              ;   in Loop: Header=BB0_28 Depth=1
	s_and_not1_saveexec_b32 s9, s9
	s_cbranch_execz .LBB0_218
; %bb.215:                              ;   in Loop: Header=BB0_28 Depth=1
	s_mov_b32 s15, exec_lo
	v_cmpx_lt_i32_e32 9, v6
	s_xor_b32 s15, exec_lo, s15
	s_delay_alu instid0(SALU_CYCLE_1)
	s_or_saveexec_b32 s15, s15
	v_dual_mov_b32 v64, v85 :: v_dual_mov_b32 v65, v86
	s_xor_b32 exec_lo, exec_lo, s15
; %bb.216:                              ;   in Loop: Header=BB0_28 Depth=1
	v_dual_mov_b32 v64, v51 :: v_dual_mov_b32 v65, v50
; %bb.217:                              ;   in Loop: Header=BB0_28 Depth=1
	s_or_b32 exec_lo, exec_lo, s15
.LBB0_218:                              ;   in Loop: Header=BB0_28 Depth=1
	s_delay_alu instid0(SALU_CYCLE_1)
	s_or_b32 exec_lo, exec_lo, s9
.LBB0_219:                              ;   in Loop: Header=BB0_28 Depth=1
	s_delay_alu instid0(SALU_CYCLE_1)
	s_or_b32 exec_lo, exec_lo, s8
                                        ; implicit-def: $vgpr6
                                        ; implicit-def: $vgpr63
.LBB0_220:                              ;   in Loop: Header=BB0_28 Depth=1
	s_and_not1_saveexec_b32 s8, s12
	s_cbranch_execz .LBB0_25
; %bb.221:                              ;   in Loop: Header=BB0_28 Depth=1
	s_mov_b32 s9, exec_lo
                                        ; implicit-def: $vgpr64
                                        ; implicit-def: $vgpr65
	v_cmpx_lt_i32_e32 3, v6
	s_xor_b32 s9, exec_lo, s9
	s_cbranch_execz .LBB0_235
; %bb.222:                              ;   in Loop: Header=BB0_28 Depth=1
	s_mov_b32 s12, exec_lo
                                        ; implicit-def: $vgpr64
                                        ; implicit-def: $vgpr65
	v_cmpx_lt_i32_e32 5, v6
	s_xor_b32 s12, exec_lo, s12
	;; [unrolled: 7-line block ×3, first 2 shown]
	s_cbranch_execz .LBB0_227
; %bb.224:                              ;   in Loop: Header=BB0_28 Depth=1
	s_mov_b32 s16, exec_lo
	v_cmpx_lt_i32_e32 7, v6
	s_xor_b32 s16, exec_lo, s16
	s_delay_alu instid0(SALU_CYCLE_1)
	s_or_saveexec_b32 s16, s16
	v_dual_mov_b32 v64, v53 :: v_dual_mov_b32 v65, v52
	s_xor_b32 exec_lo, exec_lo, s16
; %bb.225:                              ;   in Loop: Header=BB0_28 Depth=1
	v_dual_mov_b32 v64, v55 :: v_dual_mov_b32 v65, v54
; %bb.226:                              ;   in Loop: Header=BB0_28 Depth=1
	s_or_b32 exec_lo, exec_lo, s16
.LBB0_227:                              ;   in Loop: Header=BB0_28 Depth=1
	s_and_not1_saveexec_b32 s15, s15
; %bb.228:                              ;   in Loop: Header=BB0_28 Depth=1
	v_dual_mov_b32 v64, v57 :: v_dual_mov_b32 v65, v56
; %bb.229:                              ;   in Loop: Header=BB0_28 Depth=1
	s_or_b32 exec_lo, exec_lo, s15
                                        ; implicit-def: $vgpr6
.LBB0_230:                              ;   in Loop: Header=BB0_28 Depth=1
	s_and_not1_saveexec_b32 s12, s12
	s_cbranch_execz .LBB0_234
; %bb.231:                              ;   in Loop: Header=BB0_28 Depth=1
	s_mov_b32 s15, exec_lo
	v_cmpx_lt_i32_e32 4, v6
	s_xor_b32 s15, exec_lo, s15
	s_delay_alu instid0(SALU_CYCLE_1)
	s_or_saveexec_b32 s15, s15
	v_dual_add_f32 v65, -1.0, v16 :: v_dual_mov_b32 v64, v0
	s_xor_b32 exec_lo, exec_lo, s15
; %bb.232:                              ;   in Loop: Header=BB0_28 Depth=1
	v_dual_mov_b32 v64, v31 :: v_dual_mov_b32 v65, v30
; %bb.233:                              ;   in Loop: Header=BB0_28 Depth=1
	s_or_b32 exec_lo, exec_lo, s15
.LBB0_234:                              ;   in Loop: Header=BB0_28 Depth=1
	s_delay_alu instid0(SALU_CYCLE_1)
	s_or_b32 exec_lo, exec_lo, s12
                                        ; implicit-def: $vgpr6
                                        ; implicit-def: $vgpr63
.LBB0_235:                              ;   in Loop: Header=BB0_28 Depth=1
	s_and_not1_saveexec_b32 s9, s9
	s_cbranch_execz .LBB0_24
; %bb.236:                              ;   in Loop: Header=BB0_28 Depth=1
	s_mov_b32 s12, exec_lo
                                        ; implicit-def: $vgpr64
                                        ; implicit-def: $vgpr65
	v_cmpx_lt_i32_e32 1, v6
	s_xor_b32 s12, exec_lo, s12
	s_cbranch_execz .LBB0_240
; %bb.237:                              ;   in Loop: Header=BB0_28 Depth=1
	s_mov_b32 s15, exec_lo
	v_cmpx_lt_i32_e32 2, v6
	s_xor_b32 s15, exec_lo, s15
	s_delay_alu instid0(SALU_CYCLE_1)
	s_or_saveexec_b32 s15, s15
	v_dual_mov_b32 v64, v59 :: v_dual_mov_b32 v65, v1
	s_xor_b32 exec_lo, exec_lo, s15
; %bb.238:                              ;   in Loop: Header=BB0_28 Depth=1
	v_dual_mov_b32 v64, v4 :: v_dual_mov_b32 v65, v7
; %bb.239:                              ;   in Loop: Header=BB0_28 Depth=1
	s_or_b32 exec_lo, exec_lo, s15
                                        ; implicit-def: $vgpr63
                                        ; implicit-def: $vgpr6
.LBB0_240:                              ;   in Loop: Header=BB0_28 Depth=1
	s_and_not1_saveexec_b32 s12, s12
	s_cbranch_execz .LBB0_23
; %bb.241:                              ;   in Loop: Header=BB0_28 Depth=1
	s_mov_b32 s15, exec_lo
	v_cmpx_lt_i32_e32 0, v6
	s_xor_b32 s15, exec_lo, s15
; %bb.242:                              ;   in Loop: Header=BB0_28 Depth=1
                                        ; implicit-def: $vgpr63
                                        ; implicit-def: $vgpr6
; %bb.243:                              ;   in Loop: Header=BB0_28 Depth=1
	s_delay_alu instid0(SALU_CYCLE_1)
	s_or_saveexec_b32 s15, s15
	v_dual_mov_b32 v64, v82 :: v_dual_mov_b32 v65, v81
	s_xor_b32 exec_lo, exec_lo, s15
	s_cbranch_execz .LBB0_22
; %bb.244:                              ;   in Loop: Header=BB0_28 Depth=1
	s_mov_b32 s16, exec_lo
	v_cmpx_eq_u32_e32 0, v6
	s_cbranch_execz .LBB0_21
; %bb.245:                              ;   in Loop: Header=BB0_28 Depth=1
	s_wait_loadcnt 0x0
	v_dual_mov_b32 v63, v15 :: v_dual_mov_b32 v62, v14
	s_branch .LBB0_21
.LBB0_246:
	scratch_load_b64 v[0:1], off, off th:TH_LOAD_LU ; 8-byte Folded Reload
	s_mov_b32 s0, 0.5
	s_wait_loadcnt 0x0
	v_lshl_add_u64 v[4:5], v[0:1], 2, s[26:27]
	s_delay_alu instid0(VALU_DEP_1)
	v_mad_nc_u64_u32 v[6:7], v0, 20, v[4:5]
	s_clause 0x2
	global_load_b128 v[0:3], v[6:7], off offset:1360
	global_load_b64 v[8:9], v[6:7], off offset:1376
	global_load_b32 v10, v[4:5], off offset:800
	s_wait_loadcnt 0x1
	s_wait_xcnt 0x0
	v_dual_mul_f32 v1, v44, v1 :: v_dual_mul_f32 v4, v44, v8
	s_delay_alu instid0(VALU_DEP_1) | instskip(NEXT) | instid1(VALU_DEP_1)
	v_dual_fmac_f32 v1, v45, v0 :: v_dual_fmac_f32 v4, v45, v3
	v_dual_add_f32 v0, v2, v1 :: v_dual_add_f32 v1, v9, v4
	s_wait_loadcnt 0x0
	v_add_f32_e32 v2, 0.5, v10
	s_delay_alu instid0(VALU_DEP_2) | instskip(NEXT) | instid1(VALU_DEP_3)
	v_cvt_f16_f32_e32 v0, v0
	v_cvt_f16_f32_e32 v1, v1
	s_delay_alu instid0(VALU_DEP_3) | instskip(NEXT) | instid1(VALU_DEP_3)
	v_fma_mixlo_f16 v2, v2, s0, 0
	v_cvt_i16_f16_e32 v0, v0
	s_delay_alu instid0(VALU_DEP_3) | instskip(NEXT) | instid1(VALU_DEP_3)
	v_cvt_i16_f16_e32 v1, v1
	v_cvt_i16_f16_e32 v2, v2
	s_delay_alu instid0(VALU_DEP_2)
	v_perm_b32 v0, v1, v0, 0x5040100
	s_clause 0x1
	global_store_b16 v127, v2, s[30:31] scale_offset
	global_store_b32 v127, v0, s[28:29] scale_offset
	s_sendmsg sendmsg(MSG_DEALLOC_VGPRS)
	s_endpgm
	.section	.rodata,"a",@progbits
	.p2align	6, 0x0
	.amdhsa_kernel _Z17kernel_initializeP15HIP_vector_typeIsLj2EEPsPKtiPS_IfLj2EEPKf14ConstMemParams
		.amdhsa_group_segment_fixed_size 0
		.amdhsa_private_segment_fixed_size 40
		.amdhsa_kernarg_size 2232
		.amdhsa_user_sgpr_count 2
		.amdhsa_user_sgpr_dispatch_ptr 0
		.amdhsa_user_sgpr_queue_ptr 0
		.amdhsa_user_sgpr_kernarg_segment_ptr 1
		.amdhsa_user_sgpr_dispatch_id 0
		.amdhsa_user_sgpr_kernarg_preload_length 0
		.amdhsa_user_sgpr_kernarg_preload_offset 0
		.amdhsa_user_sgpr_private_segment_size 0
		.amdhsa_wavefront_size32 1
		.amdhsa_uses_dynamic_stack 0
		.amdhsa_enable_private_segment 1
		.amdhsa_system_sgpr_workgroup_id_x 1
		.amdhsa_system_sgpr_workgroup_id_y 0
		.amdhsa_system_sgpr_workgroup_id_z 0
		.amdhsa_system_sgpr_workgroup_info 0
		.amdhsa_system_vgpr_workitem_id 0
		.amdhsa_next_free_vgpr 128
		.amdhsa_next_free_sgpr 60
		.amdhsa_named_barrier_count 0
		.amdhsa_reserve_vcc 1
		.amdhsa_float_round_mode_32 0
		.amdhsa_float_round_mode_16_64 0
		.amdhsa_float_denorm_mode_32 3
		.amdhsa_float_denorm_mode_16_64 3
		.amdhsa_fp16_overflow 0
		.amdhsa_memory_ordered 1
		.amdhsa_forward_progress 1
		.amdhsa_inst_pref_size 255
		.amdhsa_round_robin_scheduling 0
		.amdhsa_exception_fp_ieee_invalid_op 0
		.amdhsa_exception_fp_denorm_src 0
		.amdhsa_exception_fp_ieee_div_zero 0
		.amdhsa_exception_fp_ieee_overflow 0
		.amdhsa_exception_fp_ieee_underflow 0
		.amdhsa_exception_fp_ieee_inexact 0
		.amdhsa_exception_int_div_zero 0
	.end_amdhsa_kernel
	.text
.Lfunc_end0:
	.size	_Z17kernel_initializeP15HIP_vector_typeIsLj2EEPsPKtiPS_IfLj2EEPKf14ConstMemParams, .Lfunc_end0-_Z17kernel_initializeP15HIP_vector_typeIsLj2EEPsPKtiPS_IfLj2EEPKf14ConstMemParams
                                        ; -- End function
	.set _Z17kernel_initializeP15HIP_vector_typeIsLj2EEPsPKtiPS_IfLj2EEPKf14ConstMemParams.num_vgpr, 128
	.set _Z17kernel_initializeP15HIP_vector_typeIsLj2EEPsPKtiPS_IfLj2EEPKf14ConstMemParams.num_agpr, 0
	.set _Z17kernel_initializeP15HIP_vector_typeIsLj2EEPsPKtiPS_IfLj2EEPKf14ConstMemParams.numbered_sgpr, 60
	.set _Z17kernel_initializeP15HIP_vector_typeIsLj2EEPsPKtiPS_IfLj2EEPKf14ConstMemParams.num_named_barrier, 0
	.set _Z17kernel_initializeP15HIP_vector_typeIsLj2EEPsPKtiPS_IfLj2EEPKf14ConstMemParams.private_seg_size, 40
	.set _Z17kernel_initializeP15HIP_vector_typeIsLj2EEPsPKtiPS_IfLj2EEPKf14ConstMemParams.uses_vcc, 1
	.set _Z17kernel_initializeP15HIP_vector_typeIsLj2EEPsPKtiPS_IfLj2EEPKf14ConstMemParams.uses_flat_scratch, 0
	.set _Z17kernel_initializeP15HIP_vector_typeIsLj2EEPsPKtiPS_IfLj2EEPKf14ConstMemParams.has_dyn_sized_stack, 0
	.set _Z17kernel_initializeP15HIP_vector_typeIsLj2EEPsPKtiPS_IfLj2EEPKf14ConstMemParams.has_recursion, 0
	.set _Z17kernel_initializeP15HIP_vector_typeIsLj2EEPsPKtiPS_IfLj2EEPKf14ConstMemParams.has_indirect_call, 0
	.section	.AMDGPU.csdata,"",@progbits
; Kernel info:
; codeLenInByte = 44348
; TotalNumSgprs: 62
; NumVgprs: 128
; ScratchSize: 40
; MemoryBound: 0
; FloatMode: 240
; IeeeMode: 1
; LDSByteSize: 0 bytes/workgroup (compile time only)
; SGPRBlocks: 0
; VGPRBlocks: 7
; NumSGPRsForWavesPerEU: 62
; NumVGPRsForWavesPerEU: 128
; NamedBarCnt: 0
; Occupancy: 8
; WaveLimiterHint : 0
; COMPUTE_PGM_RSRC2:SCRATCH_EN: 1
; COMPUTE_PGM_RSRC2:USER_SGPR: 2
; COMPUTE_PGM_RSRC2:TRAP_HANDLER: 0
; COMPUTE_PGM_RSRC2:TGID_X_EN: 1
; COMPUTE_PGM_RSRC2:TGID_Y_EN: 0
; COMPUTE_PGM_RSRC2:TGID_Z_EN: 0
; COMPUTE_PGM_RSRC2:TIDIG_COMP_CNT: 0
	.text
	.protected	_Z14kernel_iterateP15HIP_vector_typeIsLj2EEPsPKtiPKf14ConstMemParams ; -- Begin function _Z14kernel_iterateP15HIP_vector_typeIsLj2EEPsPKtiPKf14ConstMemParams
	.globl	_Z14kernel_iterateP15HIP_vector_typeIsLj2EEPsPKtiPKf14ConstMemParams
	.p2align	8
	.type	_Z14kernel_iterateP15HIP_vector_typeIsLj2EEPsPKtiPKf14ConstMemParams,@function
_Z14kernel_iterateP15HIP_vector_typeIsLj2EEPsPKtiPKf14ConstMemParams: ; @_Z14kernel_iterateP15HIP_vector_typeIsLj2EEPsPKtiPKf14ConstMemParams
; %bb.0:
	s_clause 0x1
	s_load_b32 s2, s[0:1], 0x7bc
	s_load_b32 s6, s[0:1], 0x788
	s_bfe_u32 s3, ttmp6, 0x4000c
	s_and_b32 s4, ttmp6, 15
	s_add_co_i32 s3, s3, 1
	s_getreg_b32 s5, hwreg(HW_REG_IB_STS2, 6, 4)
	s_mul_i32 s3, ttmp9, s3
	s_add_nc_u64 s[26:27], s[0:1], 40
	s_add_co_i32 s4, s4, s3
	s_wait_kmcnt 0x0
	s_and_b32 s2, s2, 0xffff
	s_cmp_eq_u32 s5, 0
	s_cselect_b32 s3, ttmp9, s4
	s_delay_alu instid0(SALU_CYCLE_1) | instskip(SKIP_1) | instid1(VALU_DEP_1)
	v_mad_u32 v16, s3, s2, v0
	s_load_b32 s2, s[0:1], 0x75c
	v_and_b32_e32 v8, 0xffffffe0, v16
	s_delay_alu instid0(VALU_DEP_1)
	v_cmp_gt_i32_e32 vcc_lo, s6, v8
	s_load_b96 s[4:6], s[0:1], 0x10
	v_cndmask_b32_e64 v1, 15, 5, vcc_lo
	v_cndmask_b32_e64 v0, 11, 0, vcc_lo
	;; [unrolled: 1-line block ×3, first 2 shown]
	global_load_b32 v2, v1, s[26:27] offset:1848 scale_offset
	s_wait_loadcnt 0x0
	v_cmp_gt_i32_e32 vcc_lo, v2, v8
	v_dual_cndmask_b32 v1, v3, v1 :: v_dual_add_nc_u32 v4, 1, v1
	s_delay_alu instid0(VALU_DEP_1) | instskip(NEXT) | instid1(VALU_DEP_1)
	v_cndmask_b32_e32 v0, v4, v0, vcc_lo
	v_add_nc_u16 v2, v0, v1
	s_delay_alu instid0(VALU_DEP_1) | instskip(NEXT) | instid1(VALU_DEP_1)
	v_lshrrev_b16 v2, 1, v2
	v_and_b32_e32 v2, 0xffff, v2
	global_load_b32 v3, v2, s[26:27] offset:1848 scale_offset
	v_add_nc_u32_e32 v4, 1, v2
	s_wait_kmcnt 0x0
	s_cmp_lt_i32 s2, 2
	s_wait_loadcnt 0x0
	v_cmp_gt_i32_e32 vcc_lo, v3, v8
	v_dual_cndmask_b32 v0, v4, v0, vcc_lo :: v_dual_cndmask_b32 v4, v1, v2, vcc_lo
	s_delay_alu instid0(VALU_DEP_1) | instskip(NEXT) | instid1(VALU_DEP_1)
	v_add_nc_u32_e32 v1, v0, v4
	v_lshrrev_b32_e32 v5, 1, v1
	v_lshl_add_u32 v1, s6, 14, v16
	global_load_u16 v9, v1, s[4:5] scale_offset
	s_wait_xcnt 0x0
	v_mov_b32_e32 v1, 0
	global_load_b32 v2, v5, s[26:27] offset:1848 scale_offset
	s_load_b128 s[4:7], s[0:1], 0x0
	v_add_nc_u32_e32 v6, 1, v5
	s_wait_loadcnt 0x0
	v_cmp_gt_i32_e32 vcc_lo, v2, v8
	s_delay_alu instid0(VALU_DEP_2) | instskip(SKIP_1) | instid1(VALU_DEP_1)
	v_dual_mov_b32 v3, v1 :: v_dual_cndmask_b32 v2, v6, v0
	v_cndmask_b32_e32 v0, v4, v5, vcc_lo
	v_add_nc_u64_e32 v[4:5], v[2:3], v[0:1]
	s_delay_alu instid0(VALU_DEP_1) | instskip(SKIP_1) | instid1(VALU_DEP_1)
	v_lshrrev_b64 v[6:7], 1, v[4:5]
	v_alignbit_b32 v4, v5, v4, 1
	v_add_nc_u32_e32 v5, 1, v4
	s_delay_alu instid0(VALU_DEP_3)
	v_lshl_add_u64 v[6:7], v[6:7], 2, s[26:27]
	global_load_b32 v3, v[6:7], off offset:1848
	s_wait_kmcnt 0x0
	s_clause 0x1
	global_load_b32 v10, v9, s[4:5] scale_offset
	global_load_u16 v17, v9, s[6:7] scale_offset
	s_wait_loadcnt 0x2
	v_cmp_gt_i32_e32 vcc_lo, v3, v8
	s_wait_loadcnt 0x1
	v_lshrrev_b32_e32 v3, 16, v10
	v_cvt_f16_i16_e32 v6, v10
	v_dual_cndmask_b32 v5, v5, v2 :: v_dual_lshlrev_b32 v2, 2, v9
	v_cndmask_b32_e32 v7, v0, v4, vcc_lo
	s_delay_alu instid0(VALU_DEP_4) | instskip(NEXT) | instid1(VALU_DEP_4)
	v_cvt_f16_i16_e32 v3, v3
	v_cvt_f32_f16_e32 v4, v6
	s_delay_alu instid0(VALU_DEP_3) | instskip(NEXT) | instid1(VALU_DEP_3)
	v_dual_lshlrev_b32 v0, 1, v9 :: v_dual_add_nc_u32 v8, v5, v7
	v_cvt_f32_f16_e32 v5, v3
	s_cbranch_scc1 .LBB1_9
; %bb.1:
	s_delay_alu instid0(VALU_DEP_1)
	v_mov_b64_e32 v[18:19], v[4:5]
	s_cmp_eq_u32 s2, 2
	s_cbranch_scc0 .LBB1_10
; %bb.2:
	v_lshrrev_b32_e32 v3, 1, v8
	v_pk_mul_f32 v[18:19], v[4:5], 0.5 op_sel_hi:[1,0]
	s_mov_b32 s3, exec_lo
	s_delay_alu instid0(VALU_DEP_2) | instskip(NEXT) | instid1(VALU_DEP_1)
	v_mul_lo_u16 v6, 0xab, v3
	v_lshrrev_b16 v6, 9, v6
	s_delay_alu instid0(VALU_DEP_1) | instskip(NEXT) | instid1(VALU_DEP_1)
	v_mul_lo_u16 v6, v6, 3
	v_sub_nc_u16 v3, v3, v6
	s_delay_alu instid0(VALU_DEP_1) | instskip(SKIP_1) | instid1(VALU_DEP_1)
	v_and_b32_e32 v3, 0xff, v3
	s_wait_xcnt 0x0
	v_cmpx_lt_i16_e32 1, v3
	s_xor_b32 s3, exec_lo, s3
; %bb.3:
	v_add_f32_e32 v19, 0.5, v19
                                        ; implicit-def: $vgpr3
; %bb.4:
	s_and_not1_saveexec_b32 s3, s3
	s_cbranch_execz .LBB1_8
; %bb.5:
	s_mov_b32 s8, exec_lo
	v_cmpx_eq_u16_e32 1, v3
; %bb.6:
	v_add_f32_e32 v18, 0.5, v18
; %bb.7:
	s_or_b32 exec_lo, exec_lo, s8
.LBB1_8:
	s_delay_alu instid0(SALU_CYCLE_1)
	s_or_b32 exec_lo, exec_lo, s3
	v_mov_b32_e32 v3, v1
	s_cbranch_execz .LBB1_11
	s_branch .LBB1_20
.LBB1_9:
                                        ; implicit-def: $vgpr18_vgpr19
	v_mov_b32_e32 v3, v1
	s_branch .LBB1_11
.LBB1_10:
	v_mov_b32_e32 v3, v1
	s_cbranch_execnz .LBB1_20
.LBB1_11:
	s_cmp_lg_u32 s2, 1
	s_cbranch_scc1 .LBB1_19
; %bb.12:
	v_mul_hi_i32 v6, 0x55555556, v16
	v_pk_mul_f32 v[4:5], v[4:5], 0.5 op_sel_hi:[1,0]
	s_mov_b32 s2, exec_lo
	s_delay_alu instid0(VALU_DEP_2) | instskip(NEXT) | instid1(VALU_DEP_1)
	v_lshrrev_b32_e32 v7, 31, v6
	v_add_nc_u32_e32 v6, v6, v7
	s_delay_alu instid0(VALU_DEP_1) | instskip(NEXT) | instid1(VALU_DEP_1)
	v_lshl_add_u32 v6, v6, 1, v6
	v_sub_nc_u32_e32 v6, v16, v6
	s_wait_xcnt 0x0
	s_delay_alu instid0(VALU_DEP_1)
	v_cmpx_lt_i32_e32 1, v6
	s_xor_b32 s2, exec_lo, s2
; %bb.13:
	v_add_f32_e32 v5, 0.5, v5
                                        ; implicit-def: $vgpr6
; %bb.14:
	s_and_not1_saveexec_b32 s2, s2
	s_cbranch_execz .LBB1_18
; %bb.15:
	s_mov_b32 s3, exec_lo
	v_cmpx_eq_u32_e32 1, v6
; %bb.16:
	v_add_f32_e32 v4, 0.5, v4
; %bb.17:
	s_or_b32 exec_lo, exec_lo, s3
.LBB1_18:
	s_delay_alu instid0(SALU_CYCLE_1)
	s_or_b32 exec_lo, exec_lo, s2
.LBB1_19:
	s_delay_alu instid0(VALU_DEP_1)
	v_mov_b64_e32 v[18:19], v[4:5]
.LBB1_20:
	v_dual_mov_b32 v15, 0 :: v_dual_lshrrev_b32 v4, 1, v8
	v_add_nc_u64_e32 v[0:1], s[6:7], v[0:1]
	s_load_b64 s[0:1], s[0:1], 0x20
	s_mov_b32 s31, 0x7fffff
	s_delay_alu instid0(VALU_DEP_2)
	v_mad_nc_u64_u32 v[12:13], v4, 24, s[26:27]
	v_mov_b32_e32 v5, v15
	s_mov_b64 s[28:29], 0xfe5163ab
	v_mov_b32_e32 v31, v15
	scratch_store_b64 off, v[0:1], off      ; 8-byte Folded Spill
	s_wait_xcnt 0x0
	v_add_nc_u64_e32 v[0:1], s[4:5], v[2:3]
	s_mov_b32 s30, 0xb94c1982
	s_mov_b32 s34, 0x37d75334
	v_dual_mov_b32 v75, v15 :: v_dual_mov_b32 v81, v15
	s_mov_b32 s36, 0xbc8cedd3
	s_mov_b32 s44, 0x3fc90fda
	scratch_store_b64 off, v[0:1], off offset:8 ; 8-byte Folded Spill
	s_clause 0x1
	global_load_b64 v[44:45], v[12:13], off offset:896
	global_load_b128 v[0:3], v[12:13], off offset:880
	s_load_b32 s2, s[26:27], 0x730
	scratch_store_b64 off, v[4:5], off offset:16 ; 8-byte Folded Spill
	v_lshl_add_u64 v[12:13], v[4:5], 4, v[12:13]
	s_wait_xcnt 0x0
	v_and_b32_e32 v4, 0x3fffff, v16
	s_mov_b32 s46, 0x33a22168
	s_mov_b32 s42, 0xbfc90fda
	;; [unrolled: 1-line block ×4, first 2 shown]
	v_lshlrev_b32_e32 v14, 2, v4
	s_mov_b32 s50, 0xbab64f3b
	s_mov_b32 s48, 0x3d2aabf7
	;; [unrolled: 1-line block ×4, first 2 shown]
	s_wait_kmcnt 0x0
	v_add_nc_u64_e32 v[4:5], s[0:1], v[14:15]
	s_mov_b32 s52, 0xbe2aaa9d
	v_dual_mov_b32 v29, v15 :: v_dual_mov_b32 v33, v15
	v_dual_mov_b32 v39, v15 :: v_dual_mov_b32 v41, v15
	v_mov_b32_e32 v49, v15
	scratch_store_b64 off, v[4:5], off offset:24 ; 8-byte Folded Spill
	s_wait_xcnt 0x0
	v_lshl_add_u32 v4, s2, 7, v16
	v_dual_mov_b32 v61, 1.0 :: v_dual_mov_b32 v55, v15
	v_dual_mov_b32 v63, v15 :: v_dual_mov_b32 v69, v15
	s_delay_alu instid0(VALU_DEP_3) | instskip(SKIP_3) | instid1(VALU_DEP_3)
	v_and_b32_e32 v4, 0x3fffff, v4
	v_dual_mov_b32 v89, v15 :: v_dual_mov_b32 v91, v15
	v_dual_mov_b32 v97, v15 :: v_dual_mov_b32 v79, v15
	s_wait_loadcnt 0x1
	v_dual_mov_b32 v23, v44 :: v_dual_lshlrev_b32 v14, 2, v4
	s_wait_loadcnt 0x0
	v_dual_mov_b32 v64, v45 :: v_dual_mov_b32 v21, v1
	v_dual_mov_b32 v22, v0 :: v_dual_mov_b32 v20, v3
	v_mov_b32_e32 v65, v2
	v_add_nc_u64_e32 v[4:5], s[0:1], v[14:15]
	s_delay_alu instid0(VALU_DEP_3) | instskip(NEXT) | instid1(VALU_DEP_1)
	v_pk_mul_f32 v[22:23], v[18:19], v[22:23]
	v_pk_fma_f32 v[18:19], v[18:19], v[20:21], v[22:23] op_sel:[0,0,1] op_sel_hi:[1,1,0]
	scratch_store_b64 off, v[4:5], off offset:32 ; 8-byte Folded Spill
	v_pk_add_f32 v[18:19], v[64:65], v[18:19]
	s_delay_alu instid0(VALU_DEP_1)
	v_pk_mul_f32 v[24:25], v[18:19], v[18:19]
	v_and_b32_e32 v43, 0x7fffffff, v19
	v_and_b32_e32 v36, 0x7fffffff, v18
	v_cmp_gt_f32_e64 s15, 0x48000000, |v18|
	v_cmp_class_f32_e64 s5, v19, 0x204
	v_mov_b32_e32 v0, v25
	v_and_or_b32 v14, v43, s31, 0x800000
	v_mul_f32_e32 v110, 0x40490fdb, v19
	v_mul_f32_e32 v120, 0x40490fdb, v18
	v_cmp_class_f32_e64 s16, v18, 0x1f8
	v_pk_fma_f32 v[22:23], v[18:19], v[18:19], v[0:1]
	v_mul_u64_e32 v[26:27], s[28:29], v[14:15]
	v_and_b32_e32 v112, 0x7fffffff, v110
	v_cmp_class_f32_e64 s17, v19, 0x1f8
	v_cmp_gt_f32_e64 s18, 0x48000000, |v110|
	v_cmp_gt_f32_e32 vcc_lo, 0xf800000, v22
	v_mul_f32_e32 v0, 0x4f800000, v22
	v_cmp_class_f32_e64 s19, v110, 0x1f8
	s_delay_alu instid0(VALU_DEP_2) | instskip(NEXT) | instid1(VALU_DEP_1)
	v_cndmask_b32_e32 v0, v22, v0, vcc_lo
	v_sqrt_f32_e32 v3, v0
	s_wait_xcnt 0x0
	v_nop
	s_delay_alu instid0(TRANS32_DEP_1) | instskip(NEXT) | instid1(VALU_DEP_1)
	v_add_nc_u32_e32 v4, -1, v3
	v_fma_f32 v5, -v4, v3, v0
	s_delay_alu instid0(VALU_DEP_1) | instskip(SKIP_1) | instid1(VALU_DEP_1)
	v_cmp_ge_f32_e64 s0, 0, v5
	v_dual_mov_b32 v28, v27 :: v_dual_add_nc_u32 v5, 1, v3
	v_dual_cndmask_b32 v4, v3, v4, s0 :: v_dual_fma_f32 v3, -v5, v3, v0
	s_delay_alu instid0(VALU_DEP_2) | instskip(NEXT) | instid1(VALU_DEP_2)
	v_mad_nc_u64_u32 v[28:29], 0x3c439041, v14, v[28:29]
	v_cmp_lt_f32_e64 s0, 0, v3
	s_delay_alu instid0(VALU_DEP_1) | instskip(SKIP_1) | instid1(VALU_DEP_3)
	v_cndmask_b32_e64 v3, v4, v5, s0
	s_mov_b32 s0, 0x3b2d2a58
	v_dual_mov_b32 v30, v29 :: v_dual_mov_b32 v29, v15
	s_delay_alu instid0(VALU_DEP_2) | instskip(NEXT) | instid1(VALU_DEP_2)
	v_mul_f32_e32 v4, 0x37800000, v3
	v_mad_nc_u64_u32 v[30:31], 0xdb629599, v14, v[30:31]
	s_delay_alu instid0(VALU_DEP_2) | instskip(SKIP_1) | instid1(VALU_DEP_2)
	v_cndmask_b32_e32 v3, v3, v4, vcc_lo
	v_cmp_class_f32_e64 vcc_lo, v0, 0x260
	v_cndmask_b32_e32 v20, v3, v0, vcc_lo
	s_delay_alu instid0(VALU_DEP_4) | instskip(NEXT) | instid1(VALU_DEP_2)
	v_dual_mov_b32 v32, v31 :: v_dual_mov_b32 v31, v15
	v_div_scale_f32 v0, null, v20, v20, 1.0
	s_delay_alu instid0(VALU_DEP_2) | instskip(NEXT) | instid1(VALU_DEP_2)
	v_mad_nc_u64_u32 v[32:33], 0xf534ddc0, v14, v[32:33]
	v_rcp_f32_e32 v3, v0
	v_nop
	s_delay_alu instid0(TRANS32_DEP_1) | instskip(NEXT) | instid1(VALU_DEP_3)
	v_fma_f32 v4, -v0, v3, 1.0
	v_dual_mov_b32 v38, v33 :: v_dual_mov_b32 v33, v15
	s_delay_alu instid0(VALU_DEP_2) | instskip(SKIP_1) | instid1(VALU_DEP_3)
	v_fmac_f32_e32 v3, v4, v3
	v_div_scale_f32 v4, vcc_lo, 1.0, v20, 1.0
	v_mad_nc_u64_u32 v[38:39], 0xfc2757d1, v14, v[38:39]
	s_delay_alu instid0(VALU_DEP_2) | instskip(NEXT) | instid1(VALU_DEP_1)
	v_mul_f32_e32 v5, v4, v3
	v_dual_fma_f32 v6, -v0, v5, v4 :: v_dual_mov_b32 v40, v39
	s_delay_alu instid0(VALU_DEP_1) | instskip(NEXT) | instid1(VALU_DEP_2)
	v_dual_mov_b32 v39, v15 :: v_dual_fmac_f32 v5, v6, v3
	v_mad_nc_u64_u32 v[40:41], 0x4e441529, v14, v[40:41]
	s_delay_alu instid0(VALU_DEP_2) | instskip(NEXT) | instid1(VALU_DEP_1)
	v_fma_f32 v0, -v0, v5, v4
	v_div_fmas_f32 v0, v0, v3, v5
	v_max_num_f32_e64 v3, |v18|, |v19|
	v_cmp_gt_f32_e64 vcc_lo, |v19|, |v18|
	v_mov_b32_e32 v46, v41
	s_delay_alu instid0(VALU_DEP_4) | instskip(NEXT) | instid1(VALU_DEP_4)
	v_div_fixup_f32 v34, v0, v20, 1.0
	v_frexp_exp_i32_f32_e32 v4, v3
	v_frexp_mant_f32_e32 v3, v3
	v_min_num_f32_e64 v0, |v18|, |v19|
	v_mov_b32_e32 v41, v15
	s_delay_alu instid0(VALU_DEP_3) | instskip(NEXT) | instid1(VALU_DEP_2)
	v_rcp_f32_e32 v3, v3
	v_frexp_exp_i32_f32_e32 v5, v0
	v_frexp_mant_f32_e32 v0, v0
	s_delay_alu instid0(TRANS32_DEP_1) | instid1(VALU_DEP_1)
	v_dual_mul_f32 v0, v0, v3 :: v_dual_sub_nc_u32 v3, v5, v4
	s_delay_alu instid0(VALU_DEP_1) | instskip(NEXT) | instid1(VALU_DEP_1)
	v_ldexp_f32 v0, v0, v3
	v_mul_f32_e32 v3, v0, v0
	s_delay_alu instid0(VALU_DEP_1) | instskip(SKIP_1) | instid1(VALU_DEP_2)
	v_fmaak_f32 v4, s0, v3, 0xbc7a590c
	v_cmp_gt_f32_e64 s0, 0x48000000, |v19|
	v_fmaak_f32 v4, v3, v4, 0x3d29fb3f
	s_delay_alu instid0(VALU_DEP_1) | instskip(NEXT) | instid1(VALU_DEP_1)
	v_fmaak_f32 v4, v3, v4, 0xbd97d4d7
	v_fmaak_f32 v4, v3, v4, 0x3dd931b2
	s_delay_alu instid0(VALU_DEP_1) | instskip(NEXT) | instid1(VALU_DEP_1)
	v_fmaak_f32 v4, v3, v4, 0xbe1160e6
	v_fmaak_f32 v4, v3, v4, 0x3e4cb8bf
	s_delay_alu instid0(VALU_DEP_1) | instskip(NEXT) | instid1(VALU_DEP_1)
	v_fmaak_f32 v4, v3, v4, 0xbeaaaa62
	v_mul_f32_e32 v3, v3, v4
	s_delay_alu instid0(VALU_DEP_1) | instskip(NEXT) | instid1(VALU_DEP_1)
	v_fmac_f32_e32 v0, v0, v3
	v_sub_f32_e32 v3, 0x3fc90fdb, v0
	s_delay_alu instid0(VALU_DEP_1) | instskip(SKIP_1) | instid1(VALU_DEP_2)
	v_cndmask_b32_e32 v0, v0, v3, vcc_lo
	v_cmp_gt_f32_e32 vcc_lo, 0, v18
	v_sub_f32_e32 v3, 0x40490fdb, v0
	s_delay_alu instid0(VALU_DEP_1) | instskip(SKIP_1) | instid1(VALU_DEP_1)
	v_cndmask_b32_e32 v0, v0, v3, vcc_lo
	v_lshrrev_b32_e32 v3, 23, v43
	v_add_nc_u32_e32 v3, 0xffffff88, v3
	s_delay_alu instid0(VALU_DEP_1) | instskip(SKIP_1) | instid1(VALU_DEP_2)
	v_cmp_lt_u32_e64 s1, 63, v3
	v_mov_b32_e32 v47, v15
	v_cndmask_b32_e64 v4, 0, 0xffffffc0, s1
	s_delay_alu instid0(VALU_DEP_2) | instskip(NEXT) | instid1(VALU_DEP_2)
	v_mad_nc_u64_u32 v[46:47], 0xa2f9836e, v14, v[46:47]
	v_add_nc_u32_e32 v3, v4, v3
	s_delay_alu instid0(VALU_DEP_1) | instskip(NEXT) | instid1(VALU_DEP_3)
	v_cmp_lt_u32_e64 s2, 31, v3
	v_cndmask_b32_e64 v5, v46, v38, s1
	s_delay_alu instid0(VALU_DEP_2) | instskip(NEXT) | instid1(VALU_DEP_1)
	v_cndmask_b32_e64 v4, 0, 0xffffffe0, s2
	v_add_nc_u32_e32 v3, v4, v3
	s_delay_alu instid0(VALU_DEP_1) | instskip(SKIP_1) | instid1(VALU_DEP_2)
	v_cmp_lt_u32_e64 s3, 31, v3
	v_cndmask_b32_e64 v7, v47, v40, s1
	v_cndmask_b32_e64 v4, 0, 0xffffffe0, s3
	s_delay_alu instid0(VALU_DEP_1) | instskip(SKIP_1) | instid1(VALU_DEP_2)
	v_add_nc_u32_e32 v3, v4, v3
	v_cndmask_b32_e64 v4, v40, v32, s1
	v_cmp_eq_u32_e64 s4, 0, v3
	s_delay_alu instid0(VALU_DEP_2) | instskip(NEXT) | instid1(VALU_DEP_1)
	v_dual_cndmask_b32 v6, v5, v4, s2 :: v_dual_cndmask_b32 v5, v7, v5, s2
	v_dual_sub_nc_u32 v3, 32, v3 :: v_dual_cndmask_b32 v5, v5, v6, s3
	v_cndmask_b32_e64 v7, v38, v30, s1
	s_delay_alu instid0(VALU_DEP_1) | instskip(NEXT) | instid1(VALU_DEP_1)
	v_cndmask_b32_e64 v4, v4, v7, s2
	v_cndmask_b32_e64 v6, v6, v4, s3
	s_delay_alu instid0(VALU_DEP_1) | instskip(NEXT) | instid1(VALU_DEP_1)
	v_alignbit_b32 v8, v5, v6, v3
	v_cndmask_b32_e64 v5, v8, v5, s4
	v_cndmask_b32_e64 v8, v32, v28, s1
	s_delay_alu instid0(VALU_DEP_2) | instskip(NEXT) | instid1(VALU_DEP_2)
	v_bfe_u32 v11, v5, 29, 1
	v_dual_cndmask_b32 v7, v7, v8, s2 :: v_dual_lshrrev_b32 v10, 29, v5
	s_delay_alu instid0(VALU_DEP_2) | instskip(NEXT) | instid1(VALU_DEP_2)
	v_dual_cndmask_b32 v16, v30, v26, s1 :: v_dual_sub_nc_u32 v14, 0, v11
	v_cndmask_b32_e64 v4, v4, v7, s3
	s_delay_alu instid0(VALU_DEP_1) | instskip(NEXT) | instid1(VALU_DEP_1)
	v_alignbit_b32 v9, v6, v4, v3
	v_dual_cndmask_b32 v6, v9, v6, s4 :: v_dual_cndmask_b32 v8, v8, v16, s2
	v_mul_f32_e32 v16, v20, v20
	s_delay_alu instid0(VALU_DEP_2) | instskip(NEXT) | instid1(VALU_DEP_1)
	v_alignbit_b32 v9, v5, v6, 30
	v_dual_cndmask_b32 v7, v7, v8, s3 :: v_dual_bitop2_b32 v9, v9, v14 bitop3:0x14
	s_delay_alu instid0(VALU_DEP_1) | instskip(NEXT) | instid1(VALU_DEP_1)
	v_alignbit_b32 v3, v4, v7, v3
	v_cndmask_b32_e64 v3, v3, v4, s4
	s_delay_alu instid0(VALU_DEP_1) | instskip(NEXT) | instid1(VALU_DEP_4)
	v_alignbit_b32 v4, v6, v3, 30
	v_clz_i32_u32_e32 v6, v9
	s_delay_alu instid0(VALU_DEP_2) | instskip(NEXT) | instid1(VALU_DEP_2)
	v_xor_b32_e32 v4, v4, v14
	v_min_u32_e32 v6, 32, v6
	v_alignbit_b32 v3, v3, v7, 30
	s_delay_alu instid0(VALU_DEP_2) | instskip(NEXT) | instid1(VALU_DEP_2)
	v_sub_nc_u32_e32 v8, 31, v6
	v_xor_b32_e32 v3, v3, v14
	v_and_or_b32 v14, v36, s31, 0x800000
	s_delay_alu instid0(VALU_DEP_3) | instskip(NEXT) | instid1(VALU_DEP_3)
	v_alignbit_b32 v9, v9, v4, v8
	v_alignbit_b32 v3, v4, v3, v8
	s_delay_alu instid0(VALU_DEP_3) | instskip(NEXT) | instid1(VALU_DEP_2)
	v_mul_u64_e32 v[26:27], s[28:29], v[14:15]
	v_alignbit_b32 v4, v9, v3, 9
	s_delay_alu instid0(VALU_DEP_1) | instskip(NEXT) | instid1(VALU_DEP_1)
	v_clz_i32_u32_e32 v7, v4
	v_min_u32_e32 v7, 32, v7
	s_delay_alu instid0(VALU_DEP_1) | instskip(SKIP_2) | instid1(VALU_DEP_3)
	v_not_b32_e32 v8, v7
	v_add_lshl_u32 v7, v7, v6, 23
	v_lshlrev_b32_e32 v6, 23, v6
	v_alignbit_b32 v3, v4, v3, v8
	s_delay_alu instid0(VALU_DEP_1) | instskip(NEXT) | instid1(VALU_DEP_1)
	v_dual_lshlrev_b32 v4, 31, v10 :: v_dual_lshrrev_b32 v3, 9, v3
	v_or_b32_e32 v8, 0x33000000, v4
	v_dual_mov_b32 v28, v27 :: v_dual_bitop2_b32 v4, 0.5, v4 bitop3:0x54
	s_delay_alu instid0(VALU_DEP_2) | instskip(NEXT) | instid1(VALU_DEP_2)
	v_sub_nc_u32_e32 v7, v8, v7
	v_sub_nc_u32_e32 v4, v4, v6
	s_delay_alu instid0(VALU_DEP_3) | instskip(NEXT) | instid1(VALU_DEP_3)
	v_mad_nc_u64_u32 v[28:29], 0x3c439041, v14, v[28:29]
	v_dual_lshrrev_b32 v7, 9, v9 :: v_dual_bitop2_b32 v3, v7, v3 bitop3:0x54
	s_delay_alu instid0(VALU_DEP_1) | instskip(NEXT) | instid1(VALU_DEP_1)
	v_dual_mov_b32 v30, v29 :: v_dual_bitop2_b32 v4, v7, v4 bitop3:0x54
	v_mul_f32_e32 v6, 0x3fc90fda, v4
	s_delay_alu instid0(VALU_DEP_2) | instskip(NEXT) | instid1(VALU_DEP_2)
	v_mad_nc_u64_u32 v[30:31], 0xdb629599, v14, v[30:31]
	v_fma_f32 v7, 0x3fc90fda, v4, -v6
	s_delay_alu instid0(VALU_DEP_1) | instskip(SKIP_1) | instid1(VALU_DEP_2)
	v_fmac_f32_e32 v7, 0x33a22168, v4
	v_mul_f32_e64 v4, 0x3f22f983, |v19|
	v_dual_mov_b32 v32, v31 :: v_dual_fmac_f32 v7, 0x3fc90fda, v3
	s_delay_alu instid0(VALU_DEP_2) | instskip(SKIP_1) | instid1(VALU_DEP_3)
	v_rndne_f32_e32 v4, v4
	v_lshrrev_b32_e32 v3, 30, v5
	v_mad_nc_u64_u32 v[32:33], 0xf534ddc0, v14, v[32:33]
	s_delay_alu instid0(VALU_DEP_3) | instskip(SKIP_1) | instid1(VALU_DEP_4)
	v_fma_f32 v35, 0xbfc90fda, v4, |v19|
	v_cvt_i32_f32_e32 v21, v4
	v_add_nc_u32_e32 v3, v11, v3
	v_add_f32_e32 v23, v6, v7
	s_delay_alu instid0(VALU_DEP_4) | instskip(NEXT) | instid1(VALU_DEP_3)
	v_fmac_f32_e32 v35, 0xb3a22168, v4
	v_dual_cndmask_b32 v83, v3, v21, s0 :: v_dual_mov_b32 v38, v33
	s_delay_alu instid0(VALU_DEP_2) | instskip(SKIP_1) | instid1(VALU_DEP_3)
	v_fmac_f32_e32 v35, 0xa7c234c4, v4
	v_lshrrev_b32_e32 v4, 23, v36
	v_mad_nc_u64_u32 v[38:39], 0xfc2757d1, v14, v[38:39]
	s_delay_alu instid0(VALU_DEP_2) | instskip(NEXT) | instid1(VALU_DEP_1)
	v_add_nc_u32_e32 v4, 0xffffff88, v4
	v_cmp_lt_u32_e64 s1, 63, v4
	s_delay_alu instid0(VALU_DEP_3) | instskip(NEXT) | instid1(VALU_DEP_2)
	v_dual_mov_b32 v47, v15 :: v_dual_mov_b32 v40, v39
	v_cndmask_b32_e64 v5, 0, 0xffffffc0, s1
	v_cndmask_b32_e64 v8, v30, v26, s1
	s_delay_alu instid0(VALU_DEP_3) | instskip(NEXT) | instid1(VALU_DEP_3)
	v_mad_nc_u64_u32 v[40:41], 0x4e441529, v14, v[40:41]
	v_add_nc_u32_e32 v4, v5, v4
	s_delay_alu instid0(VALU_DEP_1) | instskip(NEXT) | instid1(VALU_DEP_3)
	v_cmp_lt_u32_e64 s2, 31, v4
	v_mov_b32_e32 v46, v41
	s_delay_alu instid0(VALU_DEP_2) | instskip(NEXT) | instid1(VALU_DEP_2)
	v_cndmask_b32_e64 v5, 0, 0xffffffe0, s2
	v_mad_nc_u64_u32 v[46:47], 0xa2f9836e, v14, v[46:47]
	s_delay_alu instid0(VALU_DEP_2) | instskip(NEXT) | instid1(VALU_DEP_1)
	v_add_nc_u32_e32 v4, v5, v4
	v_cmp_lt_u32_e64 s3, 31, v4
	s_delay_alu instid0(VALU_DEP_1) | instskip(NEXT) | instid1(VALU_DEP_4)
	v_cndmask_b32_e64 v5, 0, 0xffffffe0, s3
	v_cndmask_b32_e64 v7, v47, v40, s1
	s_delay_alu instid0(VALU_DEP_2) | instskip(SKIP_1) | instid1(VALU_DEP_2)
	v_dual_mov_b32 v47, v15 :: v_dual_add_nc_u32 v37, v5, v4
	v_dual_cndmask_b32 v4, v40, v32, s1 :: v_dual_cndmask_b32 v5, v46, v38, s1
	v_dual_cndmask_b32 v38, v38, v30, s1 :: v_dual_sub_nc_u32 v31, 32, v37
	v_cmp_eq_u32_e64 s4, 0, v37
	s_delay_alu instid0(VALU_DEP_3) | instskip(NEXT) | instid1(VALU_DEP_1)
	v_dual_cndmask_b32 v6, v5, v4, s2 :: v_dual_cndmask_b32 v5, v7, v5, s2
	v_cndmask_b32_e64 v5, v5, v6, s3
	s_delay_alu instid0(VALU_DEP_4) | instskip(NEXT) | instid1(VALU_DEP_1)
	v_cndmask_b32_e64 v39, v4, v38, s2
	v_cndmask_b32_e64 v33, v6, v39, s3
	s_delay_alu instid0(VALU_DEP_1) | instskip(NEXT) | instid1(VALU_DEP_1)
	v_alignbit_b32 v4, v5, v33, v31
	v_cndmask_b32_e64 v37, v4, v5, s4
	v_mul_f32_e64 v5, 0x3f22f983, |v18|
	s_delay_alu instid0(VALU_DEP_2) | instskip(SKIP_1) | instid1(VALU_DEP_3)
	v_bfe_u32 v40, v37, 29, 1
	v_lshrrev_b32_e32 v27, 30, v37
	v_rndne_f32_e32 v29, v5
	v_dual_cndmask_b32 v5, v23, v35, s0 :: v_dual_lshrrev_b32 v10, 29, v37
	s_delay_alu instid0(VALU_DEP_3) | instskip(NEXT) | instid1(VALU_DEP_3)
	v_add_nc_u32_e32 v4, v40, v27
	v_cvt_i32_f32_e32 v50, v29
	s_delay_alu instid0(VALU_DEP_3) | instskip(SKIP_1) | instid1(VALU_DEP_3)
	v_dual_mul_f32 v6, v5, v5 :: v_dual_add_nc_u32 v86, v10, v27
	v_fma_f32 v85, 0xbfc90fda, v29, |v18|
	v_cndmask_b32_e64 v59, v4, v50, s15
	s_delay_alu instid0(VALU_DEP_3) | instskip(NEXT) | instid1(VALU_DEP_3)
	v_fmaak_f32 v7, s30, v6, 0x3c0881c4
	v_fmac_f32_e32 v85, 0xb3a22168, v29
	s_delay_alu instid0(VALU_DEP_2) | instskip(NEXT) | instid1(VALU_DEP_1)
	v_fmaak_f32 v7, v6, v7, 0xbe2aaa9d
	v_mul_f32_e32 v7, v6, v7
	s_delay_alu instid0(VALU_DEP_1) | instskip(SKIP_1) | instid1(VALU_DEP_1)
	v_fmac_f32_e32 v5, v5, v7
	v_fmaak_f32 v7, s34, v6, 0xbab64f3b
	v_fmaak_f32 v7, v6, v7, 0x3d2aabf7
	s_delay_alu instid0(VALU_DEP_1) | instskip(NEXT) | instid1(VALU_DEP_1)
	v_fmaak_f32 v7, v6, v7, 0xbf000004
	v_fma_f32 v6, v6, v7, 1.0
	v_dual_sub_nc_u32 v7, 0, v40 :: v_dual_bitop2_b32 v3, 1, v83 bitop3:0x40
	v_and_b32_e32 v40, 0x7fffffff, v20
	s_delay_alu instid0(VALU_DEP_2) | instskip(NEXT) | instid1(VALU_DEP_1)
	v_cmp_eq_u32_e64 s0, 0, v3
	v_dual_cndmask_b32 v58, v6, v5, s0 :: v_dual_cndmask_b32 v51, -v5, v6, s0
	v_cmp_gt_i32_e64 s0, 0, v18
	s_delay_alu instid0(VALU_DEP_1) | instskip(SKIP_1) | instid1(VALU_DEP_1)
	v_cndmask_b32_e64 v3, 0, 0x40490fdb, s0
	v_cmp_eq_f32_e64 s0, 0, v19
	v_cndmask_b32_e64 v0, v0, v3, s0
	v_mov_b32_e32 v3, 0x4016cbe4
	v_cmp_class_f32_e64 s0, v18, 0x204
	s_delay_alu instid0(VALU_DEP_2) | instskip(SKIP_1) | instid1(VALU_DEP_1)
	v_cndmask_b32_e32 v3, 0x3f490fdb, v3, vcc_lo
	s_and_b32 vcc_lo, s5, s0
	v_cndmask_b32_e32 v0, v0, v3, vcc_lo
	v_cmp_o_f32_e32 vcc_lo, v18, v19
	s_delay_alu instid0(VALU_DEP_2) | instskip(SKIP_1) | instid1(VALU_DEP_1)
	v_cndmask_b32_e32 v102, 0x7fc00000, v0, vcc_lo
	v_cndmask_b32_e64 v0, v32, v28, s1
	v_cndmask_b32_e64 v3, v38, v0, s2
	s_delay_alu instid0(VALU_DEP_1) | instskip(SKIP_1) | instid1(VALU_DEP_2)
	v_cndmask_b32_e64 v4, v39, v3, s3
	v_mov_b32_e32 v39, v15
	v_alignbit_b32 v5, v33, v4, v31
	s_delay_alu instid0(VALU_DEP_1) | instskip(SKIP_1) | instid1(VALU_DEP_2)
	v_dual_cndmask_b32 v5, v5, v33, s4 :: v_dual_cndmask_b32 v0, v0, v8, s2
	v_mov_b32_e32 v33, v15
	v_alignbit_b32 v6, v37, v5, 30
	s_delay_alu instid0(VALU_DEP_3) | instskip(SKIP_1) | instid1(VALU_DEP_3)
	v_cndmask_b32_e64 v0, v3, v0, s3
	v_mov_b32_e32 v37, 0x3f317218
	v_xor_b32_e32 v6, v6, v7
	s_delay_alu instid0(VALU_DEP_3) | instskip(SKIP_1) | instid1(VALU_DEP_2)
	v_alignbit_b32 v3, v4, v0, v31
	v_mov_b32_e32 v31, v15
	v_cndmask_b32_e64 v3, v3, v4, s4
	s_delay_alu instid0(VALU_DEP_1) | instskip(NEXT) | instid1(VALU_DEP_1)
	v_alignbit_b32 v0, v3, v0, 30
	v_xor_b32_e32 v0, v0, v7
	v_alignbit_b32 v4, v5, v3, 30
	v_clz_i32_u32_e32 v5, v6
	s_delay_alu instid0(VALU_DEP_2) | instskip(NEXT) | instid1(VALU_DEP_2)
	v_xor_b32_e32 v4, v4, v7
	v_min_u32_e32 v5, 32, v5
	s_delay_alu instid0(VALU_DEP_1) | instskip(NEXT) | instid1(VALU_DEP_1)
	v_sub_nc_u32_e32 v8, 31, v5
	v_alignbit_b32 v6, v6, v4, v8
	v_alignbit_b32 v0, v4, v0, v8
	s_delay_alu instid0(VALU_DEP_1) | instskip(NEXT) | instid1(VALU_DEP_1)
	v_alignbit_b32 v3, v6, v0, 9
	v_clz_i32_u32_e32 v4, v3
	s_delay_alu instid0(VALU_DEP_1) | instskip(NEXT) | instid1(VALU_DEP_1)
	v_min_u32_e32 v4, 32, v4
	v_not_b32_e32 v7, v4
	v_add_lshl_u32 v4, v4, v5, 23
	v_lshlrev_b32_e32 v5, 23, v5
	s_delay_alu instid0(VALU_DEP_3)
	v_alignbit_b32 v0, v3, v0, v7
	v_lshlrev_b32_e32 v3, 31, v10
	v_and_b32_e32 v41, 0x7fffffff, v102
	v_bfi_b32 v23, 0x7fffffff, v102, v19
	v_cmp_class_f32_e64 s22, v102, 0x1f8
	v_lshrrev_b32_e32 v0, 9, v0
	v_or_b32_e32 v7, 0x33000000, v3
	v_or_b32_e32 v3, 0.5, v3
	v_and_or_b32 v14, v41, s31, 0x800000
	v_sub_f32_e32 v21, v23, v20
	s_delay_alu instid0(VALU_DEP_4) | instskip(NEXT) | instid1(VALU_DEP_4)
	v_sub_nc_u32_e32 v4, v7, v4
	v_sub_nc_u32_e32 v3, v3, v5
	s_delay_alu instid0(VALU_DEP_3) | instskip(NEXT) | instid1(VALU_DEP_3)
	v_cmp_class_f32_e64 s8, v21, 0x1f8
	v_dual_lshrrev_b32 v4, 9, v6 :: v_dual_bitop2_b32 v0, v4, v0 bitop3:0x54
	s_delay_alu instid0(VALU_DEP_1) | instskip(NEXT) | instid1(VALU_DEP_1)
	v_or_b32_e32 v3, v4, v3
	v_mul_f32_e32 v4, 0x3fc90fda, v3
	s_delay_alu instid0(VALU_DEP_1) | instskip(NEXT) | instid1(VALU_DEP_1)
	v_fma_f32 v5, 0x3fc90fda, v3, -v4
	v_fmac_f32_e32 v5, 0x33a22168, v3
	s_delay_alu instid0(VALU_DEP_1) | instskip(SKIP_2) | instid1(VALU_DEP_3)
	v_fmac_f32_e32 v5, 0x3fc90fda, v0
	v_sub_f32_e32 v0, v25, v24
	v_mul_u64_e32 v[24:25], s[28:29], v[14:15]
	v_add_f32_e32 v84, v4, v5
	s_delay_alu instid0(VALU_DEP_3) | instskip(NEXT) | instid1(VALU_DEP_1)
	v_div_scale_f32 v3, null, v0, v0, 1.0
	v_rcp_f32_e32 v4, v3
	v_nop
	s_delay_alu instid0(TRANS32_DEP_1) | instskip(NEXT) | instid1(VALU_DEP_1)
	v_fma_f32 v5, -v3, v4, 1.0
	v_fmac_f32_e32 v4, v5, v4
	v_div_scale_f32 v5, vcc_lo, 1.0, v0, 1.0
	s_delay_alu instid0(VALU_DEP_1) | instskip(NEXT) | instid1(VALU_DEP_1)
	v_mul_f32_e32 v6, v5, v4
	v_dual_fma_f32 v7, -v3, v6, v5 :: v_dual_mov_b32 v30, v25
	s_delay_alu instid0(VALU_DEP_1) | instskip(NEXT) | instid1(VALU_DEP_2)
	v_fmac_f32_e32 v6, v7, v4
	v_mad_nc_u64_u32 v[30:31], 0x3c439041, v14, v[30:31]
	s_delay_alu instid0(VALU_DEP_2) | instskip(NEXT) | instid1(VALU_DEP_1)
	v_fma_f32 v3, -v3, v6, v5
	v_div_fmas_f32 v3, v3, v4, v6
	s_delay_alu instid0(VALU_DEP_3) | instskip(NEXT) | instid1(VALU_DEP_2)
	v_dual_mov_b32 v32, v31 :: v_dual_mov_b32 v31, v15
	v_div_fixup_f32 v0, v3, v0, 1.0
	s_delay_alu instid0(VALU_DEP_2) | instskip(NEXT) | instid1(VALU_DEP_2)
	v_mad_nc_u64_u32 v[32:33], 0xdb629599, v14, v[32:33]
	v_and_b32_e32 v0, 0x7fffffff, v0
	s_delay_alu instid0(VALU_DEP_1) | instskip(SKIP_1) | instid1(VALU_DEP_4)
	v_pk_mul_f32 v[4:5], v[18:19], v[0:1] op_sel_hi:[1,0]
	v_fma_f32 v0, v20, v20, 4.0
	v_dual_mov_b32 v38, v33 :: v_dual_mov_b32 v33, v15
	scratch_store_b64 off, v[4:5], off offset:52 ; 8-byte Folded Spill
	v_div_scale_f32 v3, null, v0, v0, 4.0
	v_mad_nc_u64_u32 v[38:39], 0xf534ddc0, v14, v[38:39]
	s_wait_xcnt 0x0
	s_delay_alu instid0(VALU_DEP_2) | instskip(SKIP_1) | instid1(TRANS32_DEP_1)
	v_rcp_f32_e32 v4, v3
	v_nop
	v_fma_f32 v5, -v3, v4, 1.0
	s_delay_alu instid0(VALU_DEP_3) | instskip(NEXT) | instid1(VALU_DEP_2)
	v_dual_fmac_f32 v85, 0xa7c234c4, v29 :: v_dual_mov_b32 v46, v39
	v_dual_mov_b32 v39, v15 :: v_dual_fmac_f32 v4, v5, v4
	v_div_scale_f32 v5, vcc_lo, 4.0, v0, 4.0
	s_delay_alu instid0(VALU_DEP_3) | instskip(NEXT) | instid1(VALU_DEP_2)
	v_mad_nc_u64_u32 v[46:47], 0xfc2757d1, v14, v[46:47]
	v_mul_f32_e32 v6, v5, v4
	s_delay_alu instid0(VALU_DEP_1) | instskip(NEXT) | instid1(VALU_DEP_3)
	v_fma_f32 v7, -v3, v6, v5
	v_dual_mov_b32 v48, v47 :: v_dual_mov_b32 v47, v15
	s_delay_alu instid0(VALU_DEP_2) | instskip(NEXT) | instid1(VALU_DEP_2)
	v_fmac_f32_e32 v6, v7, v4
	v_mad_nc_u64_u32 v[48:49], 0x4e441529, v14, v[48:49]
	s_delay_alu instid0(VALU_DEP_2) | instskip(NEXT) | instid1(VALU_DEP_1)
	v_fma_f32 v3, -v3, v6, v5
	v_div_fmas_f32 v3, v3, v4, v6
	s_delay_alu instid0(VALU_DEP_3) | instskip(NEXT) | instid1(VALU_DEP_2)
	v_mov_b32_e32 v52, v49
	v_div_fixup_f32 v0, v3, v0, 4.0
	v_mov_b32_e32 v49, v15
	s_delay_alu instid0(VALU_DEP_2) | instskip(SKIP_1) | instid1(VALU_DEP_1)
	v_pk_mul_f32 v[26:27], v[18:19], v[0:1] op_sel_hi:[1,0]
	v_add_f32_e32 v0, 1.0, v20
	v_div_scale_f32 v3, null, v0, v0, 2.0
	s_delay_alu instid0(VALU_DEP_1) | instskip(SKIP_1) | instid1(TRANS32_DEP_1)
	v_rcp_f32_e32 v4, v3
	v_nop
	v_fma_f32 v5, -v3, v4, 1.0
	s_delay_alu instid0(VALU_DEP_1) | instskip(SKIP_1) | instid1(VALU_DEP_1)
	v_fmac_f32_e32 v4, v5, v4
	v_div_scale_f32 v5, vcc_lo, 2.0, v0, 2.0
	v_mul_f32_e32 v6, v5, v4
	s_delay_alu instid0(VALU_DEP_1) | instskip(NEXT) | instid1(VALU_DEP_1)
	v_fma_f32 v7, -v3, v6, v5
	v_fmac_f32_e32 v6, v7, v4
	s_delay_alu instid0(VALU_DEP_1) | instskip(NEXT) | instid1(VALU_DEP_1)
	v_fma_f32 v3, -v3, v6, v5
	v_div_fmas_f32 v3, v3, v4, v6
	s_delay_alu instid0(VALU_DEP_1) | instskip(NEXT) | instid1(VALU_DEP_1)
	v_div_fixup_f32 v0, v3, v0, 2.0
	v_pk_mul_f32 v[28:29], v[18:19], v[0:1] op_sel:[1,0] op_sel_hi:[0,0]
	v_lshrrev_b32_e32 v0, 23, v41
	s_delay_alu instid0(VALU_DEP_1) | instskip(NEXT) | instid1(VALU_DEP_1)
	v_add_nc_u32_e32 v0, 0xffffff88, v0
	v_cmp_lt_u32_e32 vcc_lo, 63, v0
	v_cndmask_b32_e64 v3, 0, 0xffffffc0, vcc_lo
	s_delay_alu instid0(VALU_DEP_1) | instskip(NEXT) | instid1(VALU_DEP_1)
	v_add_nc_u32_e32 v0, v3, v0
	v_cmp_lt_u32_e64 s0, 31, v0
	v_mov_b32_e32 v53, v15
	s_delay_alu instid0(VALU_DEP_2) | instskip(NEXT) | instid1(VALU_DEP_2)
	v_cndmask_b32_e64 v3, 0, 0xffffffe0, s0
	v_mad_nc_u64_u32 v[52:53], 0xa2f9836e, v14, v[52:53]
	v_and_or_b32 v14, v112, s31, 0x800000
	s_delay_alu instid0(VALU_DEP_3) | instskip(NEXT) | instid1(VALU_DEP_1)
	v_add_nc_u32_e32 v0, v3, v0
	v_cmp_lt_u32_e64 s1, 31, v0
	s_delay_alu instid0(VALU_DEP_4) | instskip(NEXT) | instid1(VALU_DEP_2)
	v_cndmask_b32_e32 v4, v52, v46, vcc_lo
	v_cndmask_b32_e64 v3, 0, 0xffffffe0, s1
	s_delay_alu instid0(VALU_DEP_1) | instskip(NEXT) | instid1(VALU_DEP_1)
	v_dual_cndmask_b32 v3, v48, v38 :: v_dual_add_nc_u32 v0, v3, v0
	v_cmp_eq_u32_e64 s2, 0, v0
	s_delay_alu instid0(VALU_DEP_2) | instskip(SKIP_1) | instid1(VALU_DEP_2)
	v_dual_cndmask_b32 v5, v4, v3, s0 :: v_dual_cndmask_b32 v6, v53, v48, vcc_lo
	v_dual_mov_b32 v53, v15 :: v_dual_sub_nc_u32 v0, 32, v0
	v_cndmask_b32_e64 v4, v6, v4, s0
	v_cndmask_b32_e32 v6, v46, v32, vcc_lo
	s_delay_alu instid0(VALU_DEP_1) | instskip(NEXT) | instid1(VALU_DEP_1)
	v_dual_cndmask_b32 v3, v3, v6, s0 :: v_dual_cndmask_b32 v4, v4, v5, s1
	v_cndmask_b32_e64 v5, v5, v3, s1
	s_delay_alu instid0(VALU_DEP_1) | instskip(NEXT) | instid1(VALU_DEP_1)
	v_alignbit_b32 v7, v4, v5, v0
	v_dual_cndmask_b32 v113, v7, v4, s2 :: v_dual_cndmask_b32 v4, v38, v30, vcc_lo
	s_delay_alu instid0(VALU_DEP_1) | instskip(NEXT) | instid1(VALU_DEP_1)
	v_dual_cndmask_b32 v6, v6, v4, s0 :: v_dual_lshrrev_b32 v109, 30, v113
	v_cndmask_b32_e64 v3, v3, v6, s1
	s_delay_alu instid0(VALU_DEP_1) | instskip(NEXT) | instid1(VALU_DEP_1)
	v_alignbit_b32 v7, v5, v3, v0
	v_dual_cndmask_b32 v111, v7, v5, s2 :: v_dual_cndmask_b32 v5, v32, v24, vcc_lo
	v_mul_u64_e32 v[24:25], s[28:29], v[14:15]
	s_delay_alu instid0(VALU_DEP_2) | instskip(NEXT) | instid1(VALU_DEP_1)
	v_cndmask_b32_e64 v4, v4, v5, s0
	v_cndmask_b32_e64 v4, v6, v4, s1
	s_delay_alu instid0(VALU_DEP_1) | instskip(NEXT) | instid1(VALU_DEP_1)
	v_alignbit_b32 v0, v3, v4, v0
	v_dual_cndmask_b32 v114, v0, v3, s2 :: v_dual_lshrrev_b32 v0, 23, v112
	s_delay_alu instid0(VALU_DEP_1) | instskip(SKIP_1) | instid1(VALU_DEP_3)
	v_alignbit_b32 v115, v114, v4, 30
	v_mov_b32_e32 v30, v25
	v_add_nc_u32_e32 v0, 0xffffff88, v0
	s_delay_alu instid0(VALU_DEP_2) | instskip(NEXT) | instid1(VALU_DEP_2)
	v_mad_nc_u64_u32 v[30:31], 0x3c439041, v14, v[30:31]
	v_cmp_lt_u32_e32 vcc_lo, 63, v0
	v_cndmask_b32_e64 v3, 0, 0xffffffc0, vcc_lo
	s_delay_alu instid0(VALU_DEP_3) | instskip(NEXT) | instid1(VALU_DEP_1)
	v_mov_b32_e32 v32, v31
	v_mad_nc_u64_u32 v[32:33], 0xdb629599, v14, v[32:33]
	s_delay_alu instid0(VALU_DEP_1) | instskip(NEXT) | instid1(VALU_DEP_1)
	v_dual_add_nc_u32 v0, v3, v0 :: v_dual_mov_b32 v38, v33
	v_cmp_lt_u32_e64 s0, 31, v0
	s_delay_alu instid0(VALU_DEP_2) | instskip(NEXT) | instid1(VALU_DEP_2)
	v_mad_nc_u64_u32 v[38:39], 0xf534ddc0, v14, v[38:39]
	v_cndmask_b32_e64 v3, 0, 0xffffffe0, s0
	s_delay_alu instid0(VALU_DEP_2) | instskip(NEXT) | instid1(VALU_DEP_1)
	v_mov_b32_e32 v46, v39
	v_mad_nc_u64_u32 v[46:47], 0xfc2757d1, v14, v[46:47]
	s_delay_alu instid0(VALU_DEP_1) | instskip(NEXT) | instid1(VALU_DEP_1)
	v_mov_b32_e32 v48, v47
	v_mad_nc_u64_u32 v[48:49], 0x4e441529, v14, v[48:49]
	v_add_nc_u32_e32 v0, v3, v0
	s_delay_alu instid0(VALU_DEP_1) | instskip(NEXT) | instid1(VALU_DEP_1)
	v_cmp_lt_u32_e64 s1, 31, v0
	v_cndmask_b32_e64 v3, 0, 0xffffffe0, s1
	s_delay_alu instid0(VALU_DEP_4) | instskip(SKIP_2) | instid1(VALU_DEP_4)
	v_dual_mov_b32 v52, v49 :: v_dual_mov_b32 v49, v15
	v_and_b32_e32 v121, 0x7fffffff, v120
	v_cmp_gt_f32_e64 s20, 0x48000000, |v120|
	v_add_nc_u32_e32 v0, v3, v0
	s_delay_alu instid0(VALU_DEP_4)
	v_mad_nc_u64_u32 v[52:53], 0xa2f9836e, v14, v[52:53]
	v_cndmask_b32_e32 v3, v48, v38, vcc_lo
	v_cndmask_b32_e32 v14, v32, v24, vcc_lo
	v_cmp_class_f32_e64 s21, v120, 0x1f8
	v_cmp_eq_u32_e64 s2, 0, v0
	v_dual_sub_nc_u32 v0, 32, v0 :: v_dual_cndmask_b32 v4, v52, v46, vcc_lo
	v_dual_cndmask_b32 v6, v53, v48 :: v_dual_mov_b32 v53, v15
	s_delay_alu instid0(VALU_DEP_1) | instskip(NEXT) | instid1(VALU_DEP_1)
	v_dual_cndmask_b32 v5, v4, v3, s0 :: v_dual_cndmask_b32 v4, v6, v4, s0
	v_dual_cndmask_b32 v6, v46, v32, vcc_lo :: v_dual_cndmask_b32 v4, v4, v5, s1
	s_delay_alu instid0(VALU_DEP_1) | instskip(NEXT) | instid1(VALU_DEP_1)
	v_cndmask_b32_e64 v3, v3, v6, s0
	v_cndmask_b32_e64 v5, v5, v3, s1
	s_delay_alu instid0(VALU_DEP_1) | instskip(NEXT) | instid1(VALU_DEP_1)
	v_alignbit_b32 v7, v4, v5, v0
	v_dual_cndmask_b32 v4, v7, v4, s2 :: v_dual_cndmask_b32 v7, v38, v30, vcc_lo
	s_delay_alu instid0(VALU_DEP_1) | instskip(NEXT) | instid1(VALU_DEP_2)
	v_bfe_u32 v10, v4, 29, 1
	v_dual_cndmask_b32 v6, v6, v7, s0 :: v_dual_lshrrev_b32 v9, 29, v4
	s_delay_alu instid0(VALU_DEP_2) | instskip(NEXT) | instid1(VALU_DEP_2)
	v_sub_nc_u32_e32 v11, 0, v10
	v_cndmask_b32_e64 v3, v3, v6, s1
	s_delay_alu instid0(VALU_DEP_1) | instskip(NEXT) | instid1(VALU_DEP_1)
	v_alignbit_b32 v8, v5, v3, v0
	v_cndmask_b32_e64 v5, v8, v5, s2
	s_delay_alu instid0(VALU_DEP_1) | instskip(NEXT) | instid1(VALU_DEP_1)
	v_alignbit_b32 v8, v4, v5, 30
	v_dual_cndmask_b32 v7, v7, v14, s0 :: v_dual_bitop2_b32 v8, v8, v11 bitop3:0x14
	s_mov_b32 s0, 0x3ab42872
	v_and_or_b32 v14, v121, s31, 0x800000
	s_delay_alu instid0(VALU_DEP_2) | instskip(SKIP_1) | instid1(SALU_CYCLE_1)
	v_cndmask_b32_e64 v6, v6, v7, s1
	s_mov_b32 s1, -1.0
	v_mov_b64_e32 v[38:39], s[0:1]
	s_delay_alu instid0(VALU_DEP_2) | instskip(NEXT) | instid1(VALU_DEP_1)
	v_alignbit_b32 v0, v3, v6, v0
	v_cndmask_b32_e64 v0, v0, v3, s2
	s_delay_alu instid0(VALU_DEP_1) | instskip(SKIP_1) | instid1(VALU_DEP_2)
	v_alignbit_b32 v3, v5, v0, 30
	v_clz_i32_u32_e32 v5, v8
	v_xor_b32_e32 v3, v3, v11
	s_delay_alu instid0(VALU_DEP_2) | instskip(NEXT) | instid1(VALU_DEP_1)
	v_min_u32_e32 v5, 32, v5
	v_sub_nc_u32_e32 v7, 31, v5
	v_alignbit_b32 v0, v0, v6, 30
	s_delay_alu instid0(VALU_DEP_2) | instskip(NEXT) | instid1(VALU_DEP_2)
	v_alignbit_b32 v8, v8, v3, v7
	v_xor_b32_e32 v0, v0, v11
	s_delay_alu instid0(VALU_DEP_1) | instskip(NEXT) | instid1(VALU_DEP_1)
	v_alignbit_b32 v0, v3, v0, v7
	v_alignbit_b32 v3, v8, v0, 9
	s_delay_alu instid0(VALU_DEP_1) | instskip(NEXT) | instid1(VALU_DEP_1)
	v_clz_i32_u32_e32 v6, v3
	v_min_u32_e32 v6, 32, v6
	s_delay_alu instid0(VALU_DEP_1) | instskip(SKIP_2) | instid1(VALU_DEP_3)
	v_not_b32_e32 v7, v6
	v_add_lshl_u32 v6, v6, v5, 23
	v_lshlrev_b32_e32 v5, 23, v5
	v_alignbit_b32 v0, v3, v0, v7
	s_delay_alu instid0(VALU_DEP_1) | instskip(NEXT) | instid1(VALU_DEP_1)
	v_dual_lshlrev_b32 v3, 31, v9 :: v_dual_lshrrev_b32 v0, 9, v0
	v_or_b32_e32 v7, 0x33000000, v3
	s_delay_alu instid0(VALU_DEP_1) | instskip(NEXT) | instid1(VALU_DEP_1)
	v_dual_sub_nc_u32 v6, v7, v6 :: v_dual_bitop2_b32 v3, 0.5, v3 bitop3:0x54
	v_dual_sub_nc_u32 v3, v3, v5 :: v_dual_bitop2_b32 v0, v6, v0 bitop3:0x54
	v_lshrrev_b32_e32 v6, 9, v8
	s_delay_alu instid0(VALU_DEP_1) | instskip(NEXT) | instid1(VALU_DEP_1)
	v_or_b32_e32 v3, v6, v3
	v_mul_f32_e32 v5, 0x3fc90fda, v3
	s_delay_alu instid0(VALU_DEP_1) | instskip(NEXT) | instid1(VALU_DEP_1)
	v_fma_f32 v6, 0x3fc90fda, v3, -v5
	v_fmac_f32_e32 v6, 0x33a22168, v3
	s_delay_alu instid0(VALU_DEP_1) | instskip(NEXT) | instid1(VALU_DEP_1)
	v_fmac_f32_e32 v6, 0x3fc90fda, v0
	v_dual_add_f32 v117, v5, v6 :: v_dual_lshrrev_b32 v0, 30, v4
	s_delay_alu instid0(VALU_DEP_1) | instskip(SKIP_1) | instid1(VALU_DEP_1)
	v_add_nc_u32_e32 v116, v10, v0
	v_mul_f32_e64 v0, 0x3f22f983, |v110|
	v_rndne_f32_e32 v0, v0
	s_delay_alu instid0(VALU_DEP_1) | instskip(SKIP_1) | instid1(VALU_DEP_2)
	v_fma_f32 v118, 0xbfc90fda, v0, |v110|
	v_cvt_i32_f32_e32 v119, v0
	v_fmac_f32_e32 v118, 0xb3a22168, v0
	s_delay_alu instid0(VALU_DEP_1) | instskip(SKIP_1) | instid1(VALU_DEP_1)
	v_fmac_f32_e32 v118, 0xa7c234c4, v0
	v_add_f32_e64 v0, 0xbf317218, |v18|
	v_sub_f32_e64 v25, v0, |v18|
	s_delay_alu instid0(VALU_DEP_1) | instskip(NEXT) | instid1(VALU_DEP_1)
	v_sub_f32_e32 v24, v25, v0
	v_pk_add_f32 v[24:25], v[36:37], v[24:25]
	s_delay_alu instid0(VALU_DEP_1) | instskip(NEXT) | instid1(VALU_DEP_1)
	v_sub_f32_e32 v3, v24, v25
	v_add_f32_e32 v3, 0x3102e308, v3
	s_delay_alu instid0(VALU_DEP_1) | instskip(NEXT) | instid1(VALU_DEP_1)
	v_add_f32_e32 v4, v0, v3
	v_sub_f32_e32 v0, v0, v4
	s_delay_alu instid0(VALU_DEP_1) | instskip(SKIP_1) | instid1(VALU_DEP_1)
	v_add_f32_e32 v0, v3, v0
	v_mul_f32_e32 v3, 0x3fb8aa3b, v4
	v_rndne_f32_e32 v3, v3
	s_delay_alu instid0(VALU_DEP_1) | instskip(NEXT) | instid1(VALU_DEP_1)
	v_fmamk_f32 v4, v3, 0xbf317200, v4
	v_add_f32_e32 v5, v0, v4
	s_delay_alu instid0(VALU_DEP_1) | instskip(NEXT) | instid1(VALU_DEP_1)
	v_sub_f32_e32 v4, v4, v5
	v_add_f32_e32 v0, v0, v4
	v_mul_f32_e32 v4, 0x35bfbc00, v3
	v_mul_f32_e32 v25, 0x2ea39ef3, v3
	v_cvt_i32_f32_e32 v3, v3
	s_delay_alu instid0(VALU_DEP_3) | instskip(NEXT) | instid1(VALU_DEP_1)
	v_sub_f32_e32 v30, v5, v4
	v_sub_f32_e32 v5, v5, v30
	s_delay_alu instid0(VALU_DEP_1) | instskip(NEXT) | instid1(VALU_DEP_1)
	v_sub_f32_e32 v4, v5, v4
	v_add_f32_e32 v0, v0, v4
	s_delay_alu instid0(VALU_DEP_1) | instskip(NEXT) | instid1(VALU_DEP_1)
	v_add_f32_e32 v31, v30, v0
	v_mov_b32_e32 v24, v31
	s_delay_alu instid0(VALU_DEP_1) | instskip(NEXT) | instid1(VALU_DEP_1)
	v_pk_add_f32 v[32:33], v[30:31], v[24:25] neg_lo:[0,1] neg_hi:[0,1]
	v_dual_sub_f32 v4, v31, v33 :: v_dual_add_f32 v0, v0, v32
	s_delay_alu instid0(VALU_DEP_1) | instskip(NEXT) | instid1(VALU_DEP_1)
	v_dual_sub_f32 v4, v4, v25 :: v_dual_mov_b32 v25, -1.0
	v_add_f32_e32 v0, v0, v4
	s_delay_alu instid0(VALU_DEP_1) | instskip(NEXT) | instid1(VALU_DEP_1)
	v_add_f32_e32 v4, v33, v0
	v_dual_sub_f32 v6, v33, v4 :: v_dual_fmaak_f32 v5, s0, v4, 0x3c091de6
	v_cmp_lt_f32_e64 s0, 0x42b2d4fc, |v18|
	s_delay_alu instid0(VALU_DEP_2) | instskip(SKIP_1) | instid1(VALU_DEP_2)
	v_add_f32_e32 v0, v0, v6
	v_mul_f32_e32 v7, v4, v4
	v_add_f32_e32 v6, v0, v0
	s_delay_alu instid0(VALU_DEP_2) | instskip(NEXT) | instid1(VALU_DEP_1)
	v_fma_f32 v8, v4, v4, -v7
	v_dual_fmaak_f32 v5, v4, v5, 0x3d2aadcc :: v_dual_fmac_f32 v8, v4, v6
	s_delay_alu instid0(VALU_DEP_1) | instskip(NEXT) | instid1(VALU_DEP_1)
	v_dual_fmaak_f32 v5, v4, v5, 0x3e2aaa47 :: v_dual_add_f32 v6, v7, v8
	v_fmaak_f32 v5, v4, v5, 0x3efffffc
	s_delay_alu instid0(VALU_DEP_2) | instskip(NEXT) | instid1(VALU_DEP_1)
	v_sub_f32_e32 v7, v6, v7
	v_dual_sub_f32 v7, v8, v7 :: v_dual_mul_f32 v8, v5, v6
	s_delay_alu instid0(VALU_DEP_1) | instskip(NEXT) | instid1(VALU_DEP_1)
	v_fma_f32 v6, v6, v5, -v8
	v_fmac_f32_e32 v6, v7, v5
	s_delay_alu instid0(VALU_DEP_1) | instskip(NEXT) | instid1(VALU_DEP_1)
	v_add_f32_e32 v5, v8, v6
	v_dual_sub_f32 v7, v5, v8 :: v_dual_add_f32 v24, v4, v5
	s_delay_alu instid0(VALU_DEP_1) | instskip(NEXT) | instid1(VALU_DEP_1)
	v_dual_sub_f32 v6, v6, v7 :: v_dual_sub_f32 v4, v24, v4
	v_dual_add_f32 v0, v0, v6 :: v_dual_sub_f32 v4, v5, v4
	s_delay_alu instid0(VALU_DEP_1) | instskip(NEXT) | instid1(VALU_DEP_1)
	v_add_f32_e32 v30, v0, v4
	v_add_f32_e32 v32, v24, v30
	s_delay_alu instid0(VALU_DEP_1) | instskip(NEXT) | instid1(VALU_DEP_1)
	v_dual_add_f32 v33, 1.0, v32 :: v_dual_mov_b32 v31, v32
	v_pk_add_f32 v[38:39], v[32:33], v[38:39]
	v_pk_add_f32 v[24:25], v[32:33], v[24:25] neg_lo:[0,1] neg_hi:[0,1]
	s_delay_alu instid0(VALU_DEP_2) | instskip(NEXT) | instid1(VALU_DEP_1)
	v_mov_b32_e32 v25, v39
	v_pk_add_f32 v[24:25], v[30:31], v[24:25] neg_lo:[0,1] neg_hi:[0,1]
	s_delay_alu instid0(VALU_DEP_1) | instskip(NEXT) | instid1(VALU_DEP_1)
	v_add_f32_e32 v0, v24, v25
	v_add_f32_e32 v4, v33, v0
	s_delay_alu instid0(VALU_DEP_1) | instskip(SKIP_1) | instid1(VALU_DEP_2)
	v_sub_f32_e32 v5, v4, v33
	v_ldexp_f32 v24, v4, v3
	v_sub_f32_e32 v0, v0, v5
	s_delay_alu instid0(VALU_DEP_1) | instskip(NEXT) | instid1(VALU_DEP_3)
	v_ldexp_f32 v25, v0, v3
	v_rcp_f32_e32 v0, v24
	v_nop
	s_delay_alu instid0(TRANS32_DEP_1) | instskip(NEXT) | instid1(VALU_DEP_1)
	v_mul_f32_e32 v30, v24, v0
	v_fma_f32 v32, v0, v24, -v30
	s_delay_alu instid0(VALU_DEP_1) | instskip(NEXT) | instid1(VALU_DEP_1)
	v_fmac_f32_e32 v32, v0, v25
	v_add_f32_e32 v60, v30, v32
	s_delay_alu instid0(VALU_DEP_1) | instskip(NEXT) | instid1(VALU_DEP_1)
	v_dual_sub_f32 v31, 1.0, v60 :: v_dual_mov_b32 v33, v60
	v_pk_add_f32 v[38:39], v[60:61], v[30:31] neg_lo:[0,1] neg_hi:[0,1]
	s_delay_alu instid0(VALU_DEP_1) | instskip(NEXT) | instid1(VALU_DEP_1)
	v_pk_add_f32 v[32:33], v[38:39], v[32:33] neg_lo:[0,1] neg_hi:[0,1]
	v_add_f32_e32 v3, v32, v33
	s_delay_alu instid0(VALU_DEP_1) | instskip(NEXT) | instid1(VALU_DEP_1)
	v_add_f32_e32 v33, v31, v3
	v_dual_mul_f32 v4, v0, v33 :: v_dual_sub_f32 v5, v31, v33
	s_delay_alu instid0(VALU_DEP_1) | instskip(SKIP_1) | instid1(VALU_DEP_2)
	v_dual_add_f32 v3, v3, v5 :: v_dual_mul_f32 v30, v24, v4
	v_add_f32_e32 v5, v0, v4
	v_fma_f32 v38, v4, v24, -v30
	s_delay_alu instid0(VALU_DEP_1) | instskip(NEXT) | instid1(VALU_DEP_1)
	v_fmac_f32_e32 v38, v4, v25
	v_add_f32_e32 v32, v30, v38
	s_delay_alu instid0(VALU_DEP_1) | instskip(NEXT) | instid1(VALU_DEP_1)
	v_dual_sub_f32 v31, v33, v32 :: v_dual_mov_b32 v39, v32
	v_pk_add_f32 v[46:47], v[32:33], v[30:31] neg_lo:[0,1] neg_hi:[0,1]
	s_delay_alu instid0(VALU_DEP_1) | instskip(SKIP_1) | instid1(VALU_DEP_2)
	v_pk_add_f32 v[32:33], v[46:47], v[38:39] neg_lo:[0,1] neg_hi:[0,1]
	v_mov_b32_e32 v47, v15
	v_add_f32_e32 v3, v3, v33
	s_delay_alu instid0(VALU_DEP_1) | instskip(NEXT) | instid1(VALU_DEP_1)
	v_add_f32_e32 v3, v32, v3
	v_add_f32_e32 v3, v31, v3
	s_delay_alu instid0(VALU_DEP_1) | instskip(NEXT) | instid1(VALU_DEP_1)
	v_dual_mul_f32 v3, v0, v3 :: v_dual_sub_f32 v0, v5, v0
	v_sub_f32_e32 v0, v4, v0
	s_delay_alu instid0(VALU_DEP_1) | instskip(NEXT) | instid1(VALU_DEP_1)
	v_add_f32_e32 v0, v0, v3
	v_add_f32_e32 v3, v5, v0
	s_delay_alu instid0(VALU_DEP_1) | instskip(SKIP_1) | instid1(VALU_DEP_2)
	v_sub_f32_e32 v4, v3, v5
	v_ldexp_f32 v30, v3, -2
	v_sub_f32_e32 v0, v0, v4
	s_delay_alu instid0(VALU_DEP_1) | instskip(NEXT) | instid1(VALU_DEP_1)
	v_ldexp_f32 v31, v0, -2
	v_pk_add_f32 v[32:33], v[24:25], v[30:31]
	s_delay_alu instid0(VALU_DEP_1) | instskip(NEXT) | instid1(VALU_DEP_1)
	v_sub_f32_e32 v0, v32, v24
	v_sub_f32_e32 v0, v30, v0
	s_delay_alu instid0(VALU_DEP_1) | instskip(NEXT) | instid1(VALU_DEP_1)
	v_dual_add_f32 v0, v33, v0 :: v_dual_mov_b32 v33, v15
	v_add_f32_e32 v0, v32, v0
	s_delay_alu instid0(VALU_DEP_1) | instskip(SKIP_1) | instid1(VALU_DEP_1)
	v_cndmask_b32_e64 v39, v0, 0x7f800000, s0
	v_sub_f32_e32 v0, v24, v30
	v_sub_f32_e32 v3, v24, v0
	s_delay_alu instid0(VALU_DEP_1) | instskip(NEXT) | instid1(VALU_DEP_1)
	v_sub_f32_e32 v3, v3, v30
	v_add_f32_e32 v3, v25, v3
	v_mul_u64_e32 v[24:25], s[28:29], v[14:15]
	s_delay_alu instid0(VALU_DEP_2) | instskip(NEXT) | instid1(VALU_DEP_1)
	v_sub_f32_e32 v3, v3, v31
	v_dual_mov_b32 v31, v15 :: v_dual_add_f32 v0, v0, v3
	s_delay_alu instid0(VALU_DEP_1) | instskip(SKIP_1) | instid1(VALU_DEP_1)
	v_cndmask_b32_e64 v0, v0, 0x7f800000, s0
	v_cmp_gt_f32_e64 s0, 0x39800000, |v18|
	v_cndmask_b32_e64 v0, v0, |v18|, s0
	s_delay_alu instid0(VALU_DEP_1) | instskip(SKIP_1) | instid1(VALU_DEP_1)
	v_bfi_b32 v38, 0x7fffffff, v0, v18
	v_add_f32_e32 v0, -1.0, v19
	v_dual_mul_f32 v3, 0x3fb8aa3b, v0 :: v_dual_mov_b32 v30, v25
	v_cmp_ngt_f32_e32 vcc_lo, 0xc2ce8ed0, v0
	s_delay_alu instid0(VALU_DEP_2) | instskip(SKIP_1) | instid1(VALU_DEP_4)
	v_fma_f32 v4, 0x3fb8aa3b, v0, -v3
	v_rndne_f32_e32 v5, v3
	v_mad_nc_u64_u32 v[30:31], 0x3c439041, v14, v[30:31]
	s_delay_alu instid0(VALU_DEP_2) | instskip(NEXT) | instid1(VALU_DEP_1)
	v_dual_fmac_f32 v4, 0x32a5705f, v0 :: v_dual_sub_f32 v3, v3, v5
	v_add_f32_e32 v3, v3, v4
	v_cvt_i32_f32_e32 v4, v5
	s_delay_alu instid0(VALU_DEP_4) | instskip(NEXT) | instid1(VALU_DEP_3)
	v_dual_mov_b32 v32, v31 :: v_dual_mov_b32 v31, v15
	v_exp_f32_e32 v3, v3
	s_delay_alu instid0(VALU_DEP_1) | instskip(NEXT) | instid1(TRANS32_DEP_1)
	v_mad_nc_u64_u32 v[32:33], 0xdb629599, v14, v[32:33]
	v_ldexp_f32 v3, v3, v4
	s_delay_alu instid0(VALU_DEP_1) | instskip(SKIP_1) | instid1(VALU_DEP_4)
	v_cndmask_b32_e32 v3, 0, v3, vcc_lo
	v_cmp_nlt_f32_e32 vcc_lo, 0x42b17218, v0
	v_dual_lshrrev_b32 v0, 23, v121 :: v_dual_mov_b32 v46, v33
	s_delay_alu instid0(VALU_DEP_3) | instskip(NEXT) | instid1(VALU_DEP_2)
	v_dual_mov_b32 v33, v15 :: v_dual_cndmask_b32 v42, 0x7f800000, v3
	v_add_nc_u32_e32 v0, 0xffffff88, v0
	s_delay_alu instid0(VALU_DEP_3) | instskip(NEXT) | instid1(VALU_DEP_2)
	v_mad_nc_u64_u32 v[46:47], 0xf534ddc0, v14, v[46:47]
	v_cmp_lt_u32_e32 vcc_lo, 63, v0
	v_cndmask_b32_e64 v3, 0, 0xffffffc0, vcc_lo
	s_delay_alu instid0(VALU_DEP_3) | instskip(NEXT) | instid1(VALU_DEP_2)
	v_mov_b32_e32 v48, v47
	v_add_nc_u32_e32 v0, v3, v0
	s_delay_alu instid0(VALU_DEP_2) | instskip(NEXT) | instid1(VALU_DEP_2)
	v_mad_nc_u64_u32 v[48:49], 0xfc2757d1, v14, v[48:49]
	v_cmp_lt_u32_e64 s0, 31, v0
	s_delay_alu instid0(VALU_DEP_1) | instskip(NEXT) | instid1(VALU_DEP_1)
	v_cndmask_b32_e64 v3, 0, 0xffffffe0, s0
	v_dual_mov_b32 v52, v49 :: v_dual_add_nc_u32 v0, v3, v0
	s_delay_alu instid0(VALU_DEP_1) | instskip(NEXT) | instid1(VALU_DEP_2)
	v_mad_nc_u64_u32 v[52:53], 0x4e441529, v14, v[52:53]
	v_cmp_lt_u32_e64 s1, 31, v0
	s_delay_alu instid0(VALU_DEP_1) | instskip(NEXT) | instid1(VALU_DEP_1)
	v_cndmask_b32_e64 v3, 0, 0xffffffe0, s1
	v_dual_mov_b32 v54, v53 :: v_dual_add_nc_u32 v0, v3, v0
	s_delay_alu instid0(VALU_DEP_4) | instskip(NEXT) | instid1(VALU_DEP_2)
	v_dual_cndmask_b32 v3, v52, v46, vcc_lo :: v_dual_mov_b32 v53, v15
	v_mad_nc_u64_u32 v[54:55], 0xa2f9836e, v14, v[54:55]
	s_delay_alu instid0(VALU_DEP_3) | instskip(SKIP_1) | instid1(VALU_DEP_3)
	v_cmp_eq_u32_e64 s2, 0, v0
	v_sub_nc_u32_e32 v0, 32, v0
	v_cndmask_b32_e32 v4, v54, v48, vcc_lo
	s_delay_alu instid0(VALU_DEP_4) | instskip(NEXT) | instid1(VALU_DEP_2)
	v_cndmask_b32_e32 v6, v55, v52, vcc_lo
	v_dual_mov_b32 v55, v15 :: v_dual_cndmask_b32 v5, v4, v3, s0
	s_delay_alu instid0(VALU_DEP_2) | instskip(SKIP_1) | instid1(VALU_DEP_1)
	v_cndmask_b32_e64 v4, v6, v4, s0
	v_cndmask_b32_e32 v6, v48, v32, vcc_lo
	v_dual_cndmask_b32 v4, v4, v5, s1 :: v_dual_cndmask_b32 v3, v3, v6, s0
	s_delay_alu instid0(VALU_DEP_1) | instskip(NEXT) | instid1(VALU_DEP_1)
	v_cndmask_b32_e64 v5, v5, v3, s1
	v_alignbit_b32 v7, v4, v5, v0
	s_delay_alu instid0(VALU_DEP_1) | instskip(NEXT) | instid1(VALU_DEP_1)
	v_dual_cndmask_b32 v4, v7, v4, s2 :: v_dual_cndmask_b32 v7, v46, v30, vcc_lo
	v_cndmask_b32_e64 v6, v6, v7, s0
	s_delay_alu instid0(VALU_DEP_2) | instskip(SKIP_1) | instid1(VALU_DEP_3)
	v_bfe_u32 v10, v4, 29, 1
	v_lshrrev_b32_e32 v9, 29, v4
	v_dual_cndmask_b32 v14, v32, v24, vcc_lo :: v_dual_cndmask_b32 v3, v3, v6, s1
	s_delay_alu instid0(VALU_DEP_3) | instskip(NEXT) | instid1(VALU_DEP_2)
	v_sub_nc_u32_e32 v11, 0, v10
	v_cndmask_b32_e64 v7, v7, v14, s0
	s_mov_b32 s0, 0x40400000
	s_delay_alu instid0(VALU_DEP_3) | instskip(SKIP_1) | instid1(VALU_DEP_2)
	v_alignbit_b32 v8, v5, v3, v0
	v_pk_mul_f32 v[46:47], v[18:19], s[0:1] op_sel_hi:[1,0]
	v_dual_cndmask_b32 v6, v6, v7, s1 :: v_dual_cndmask_b32 v5, v8, v5, s2
	s_delay_alu instid0(VALU_DEP_2) | instskip(NEXT) | instid1(VALU_DEP_3)
	v_and_b32_e32 v48, 0x7fffffff, v46
	v_and_b32_e32 v49, 0x7fffffff, v47
	s_delay_alu instid0(VALU_DEP_3)
	v_alignbit_b32 v0, v3, v6, v0
	v_cmp_class_f32_e64 s10, v46, 0x1f8
	v_alignbit_b32 v8, v4, v5, 30
	v_and_or_b32 v14, v48, s31, 0x800000
	v_cmp_class_f32_e64 s11, v47, 0x1f8
	v_cndmask_b32_e64 v0, v0, v3, s2
	s_delay_alu instid0(VALU_DEP_4) | instskip(NEXT) | instid1(VALU_DEP_4)
	v_xor_b32_e32 v8, v8, v11
	v_mul_u64_e32 v[24:25], s[28:29], v[14:15]
	s_delay_alu instid0(VALU_DEP_3) | instskip(NEXT) | instid1(VALU_DEP_3)
	v_alignbit_b32 v3, v5, v0, 30
	v_clz_i32_u32_e32 v5, v8
	s_delay_alu instid0(VALU_DEP_2) | instskip(NEXT) | instid1(VALU_DEP_2)
	v_xor_b32_e32 v3, v3, v11
	v_min_u32_e32 v5, 32, v5
	s_delay_alu instid0(VALU_DEP_1) | instskip(SKIP_1) | instid1(VALU_DEP_2)
	v_sub_nc_u32_e32 v7, 31, v5
	v_alignbit_b32 v0, v0, v6, 30
	v_alignbit_b32 v8, v8, v3, v7
	s_delay_alu instid0(VALU_DEP_2) | instskip(NEXT) | instid1(VALU_DEP_1)
	v_xor_b32_e32 v0, v0, v11
	v_alignbit_b32 v0, v3, v0, v7
	s_delay_alu instid0(VALU_DEP_1) | instskip(SKIP_1) | instid1(VALU_DEP_2)
	v_alignbit_b32 v3, v8, v0, 9
	v_mov_b32_e32 v30, v25
	v_clz_i32_u32_e32 v6, v3
	s_delay_alu instid0(VALU_DEP_2) | instskip(NEXT) | instid1(VALU_DEP_2)
	v_mad_nc_u64_u32 v[30:31], 0x3c439041, v14, v[30:31]
	v_min_u32_e32 v6, 32, v6
	s_delay_alu instid0(VALU_DEP_1) | instskip(SKIP_1) | instid1(VALU_DEP_4)
	v_not_b32_e32 v7, v6
	v_add_lshl_u32 v6, v6, v5, 23
	v_dual_mov_b32 v32, v31 :: v_dual_lshlrev_b32 v5, 23, v5
	v_mov_b32_e32 v31, v15
	s_delay_alu instid0(VALU_DEP_4) | instskip(SKIP_1) | instid1(VALU_DEP_4)
	v_alignbit_b32 v0, v3, v0, v7
	v_lshlrev_b32_e32 v3, 31, v9
	v_mad_nc_u64_u32 v[32:33], 0xdb629599, v14, v[32:33]
	s_delay_alu instid0(VALU_DEP_3) | instskip(NEXT) | instid1(VALU_DEP_3)
	v_lshrrev_b32_e32 v0, 9, v0
	v_or_b32_e32 v7, 0x33000000, v3
	s_delay_alu instid0(VALU_DEP_1) | instskip(NEXT) | instid1(VALU_DEP_1)
	v_dual_sub_nc_u32 v6, v7, v6 :: v_dual_bitop2_b32 v3, 0.5, v3 bitop3:0x54
	v_dual_mov_b32 v52, v33 :: v_dual_sub_nc_u32 v3, v3, v5
	s_delay_alu instid0(VALU_DEP_2) | instskip(SKIP_1) | instid1(VALU_DEP_3)
	v_dual_mov_b32 v33, v15 :: v_dual_bitop2_b32 v0, v6, v0 bitop3:0x54
	v_lshrrev_b32_e32 v6, 9, v8
	v_mad_nc_u64_u32 v[52:53], 0xf534ddc0, v14, v[52:53]
	s_delay_alu instid0(VALU_DEP_2) | instskip(NEXT) | instid1(VALU_DEP_1)
	v_or_b32_e32 v3, v6, v3
	v_dual_mul_f32 v5, 0x3fc90fda, v3 :: v_dual_mov_b32 v54, v53
	v_mov_b32_e32 v53, v15
	s_delay_alu instid0(VALU_DEP_2) | instskip(NEXT) | instid1(VALU_DEP_3)
	v_fma_f32 v6, 0x3fc90fda, v3, -v5
	v_mad_nc_u64_u32 v[54:55], 0xfc2757d1, v14, v[54:55]
	s_delay_alu instid0(VALU_DEP_2) | instskip(NEXT) | instid1(VALU_DEP_1)
	v_fmac_f32_e32 v6, 0x33a22168, v3
	v_fmac_f32_e32 v6, 0x3fc90fda, v0
	s_delay_alu instid0(VALU_DEP_3) | instskip(NEXT) | instid1(VALU_DEP_1)
	v_dual_lshrrev_b32 v0, 30, v4 :: v_dual_mov_b32 v56, v55
	v_dual_add_f32 v122, v5, v6 :: v_dual_add_nc_u32 v123, v10, v0
	v_mul_f32_e64 v0, 0x3f22f983, |v120|
	s_delay_alu instid0(VALU_DEP_1) | instskip(NEXT) | instid1(VALU_DEP_1)
	v_rndne_f32_e32 v0, v0
	v_fma_f32 v124, 0xbfc90fda, v0, |v120|
	v_cvt_i32_f32_e32 v125, v0
	s_delay_alu instid0(VALU_DEP_2) | instskip(NEXT) | instid1(VALU_DEP_1)
	v_fmac_f32_e32 v124, 0xb3a22168, v0
	v_fmac_f32_e32 v124, 0xa7c234c4, v0
	v_lshrrev_b32_e32 v0, 23, v48
	s_delay_alu instid0(VALU_DEP_1) | instskip(NEXT) | instid1(VALU_DEP_1)
	v_add_nc_u32_e32 v0, 0xffffff88, v0
	v_cmp_lt_u32_e32 vcc_lo, 63, v0
	v_mov_b32_e32 v57, v15
	v_cndmask_b32_e64 v3, 0, 0xffffffc0, vcc_lo
	s_delay_alu instid0(VALU_DEP_2) | instskip(NEXT) | instid1(VALU_DEP_2)
	v_mad_nc_u64_u32 v[56:57], 0x4e441529, v14, v[56:57]
	v_add_nc_u32_e32 v0, v3, v0
	s_delay_alu instid0(VALU_DEP_1) | instskip(NEXT) | instid1(VALU_DEP_3)
	v_cmp_lt_u32_e64 s13, 31, v0
	v_dual_mov_b32 v62, v57 :: v_dual_cndmask_b32 v73, v56, v52
	v_mov_b32_e32 v57, v15
	s_delay_alu instid0(VALU_DEP_3) | instskip(NEXT) | instid1(VALU_DEP_3)
	v_cndmask_b32_e64 v3, 0, 0xffffffe0, s13
	v_mad_nc_u64_u32 v[62:63], 0xa2f9836e, v14, v[62:63]
	v_and_or_b32 v14, v49, s31, 0x800000
	s_delay_alu instid0(VALU_DEP_3) | instskip(SKIP_1) | instid1(VALU_DEP_1)
	v_add_nc_u32_e32 v107, v3, v0
	v_dual_cndmask_b32 v0, v54, v32 :: v_dual_cndmask_b32 v3, v52, v30
	v_dual_cndmask_b32 v103, v73, v0, s13 :: v_dual_cndmask_b32 v71, v62, v54, vcc_lo
	s_delay_alu instid0(VALU_DEP_2) | instskip(SKIP_2) | instid1(VALU_DEP_1)
	v_dual_cndmask_b32 v72, v63, v56, vcc_lo :: v_dual_cndmask_b32 v54, v0, v3, s13
	v_cndmask_b32_e32 v0, v32, v24, vcc_lo
	v_mul_u64_e32 v[24:25], s[28:29], v[14:15]
	v_dual_mov_b32 v63, v15 :: v_dual_mov_b32 v30, v25
	s_delay_alu instid0(VALU_DEP_3) | instskip(NEXT) | instid1(VALU_DEP_2)
	v_dual_cndmask_b32 v55, v3, v0, s13 :: v_dual_lshrrev_b32 v0, 23, v49
	v_mad_nc_u64_u32 v[30:31], 0x3c439041, v14, v[30:31]
	s_delay_alu instid0(VALU_DEP_2) | instskip(NEXT) | instid1(VALU_DEP_1)
	v_add_nc_u32_e32 v0, 0xffffff88, v0
	v_cmp_lt_u32_e32 vcc_lo, 63, v0
	s_delay_alu instid0(VALU_DEP_3) | instskip(SKIP_1) | instid1(VALU_DEP_2)
	v_mov_b32_e32 v32, v31
	v_cndmask_b32_e64 v3, 0, 0xffffffc0, vcc_lo
	v_mad_nc_u64_u32 v[32:33], 0xdb629599, v14, v[32:33]
	s_delay_alu instid0(VALU_DEP_1) | instskip(NEXT) | instid1(VALU_DEP_1)
	v_dual_add_nc_u32 v0, v3, v0 :: v_dual_mov_b32 v52, v33
	v_cmp_lt_u32_e64 s14, 31, v0
	v_mov_b32_e32 v33, v15
	s_delay_alu instid0(VALU_DEP_3) | instskip(NEXT) | instid1(VALU_DEP_3)
	v_mad_nc_u64_u32 v[52:53], 0xf534ddc0, v14, v[52:53]
	v_cndmask_b32_e64 v3, 0, 0xffffffe0, s14
	s_delay_alu instid0(VALU_DEP_1) | instskip(NEXT) | instid1(VALU_DEP_3)
	v_dual_add_nc_u32 v108, v3, v0 :: v_dual_mov_b32 v56, v53
	v_cndmask_b32_e32 v3, v52, v30, vcc_lo
	s_delay_alu instid0(VALU_DEP_2) | instskip(NEXT) | instid1(VALU_DEP_1)
	v_mad_nc_u64_u32 v[56:57], 0xfc2757d1, v14, v[56:57]
	v_dual_mov_b32 v67, v15 :: v_dual_mov_b32 v62, v57
	s_delay_alu instid0(VALU_DEP_2) | instskip(NEXT) | instid1(VALU_DEP_2)
	v_cndmask_b32_e32 v0, v56, v32, vcc_lo
	v_mad_nc_u64_u32 v[62:63], 0x4e441529, v14, v[62:63]
	s_delay_alu instid0(VALU_DEP_1) | instskip(NEXT) | instid1(VALU_DEP_3)
	v_dual_cndmask_b32 v106, v62, v52, vcc_lo :: v_dual_mov_b32 v66, v63
	v_dual_cndmask_b32 v52, v0, v3, s14 :: v_dual_mov_b32 v63, v15
	s_delay_alu instid0(VALU_DEP_2) | instskip(NEXT) | instid1(VALU_DEP_3)
	v_cndmask_b32_e64 v70, v106, v0, s14
	v_mad_nc_u64_u32 v[66:67], 0xa2f9836e, v14, v[66:67]
	v_cndmask_b32_e32 v0, v32, v24, vcc_lo
	v_mov_b64_e32 v[24:25], 0x400000003f000000
	s_delay_alu instid0(VALU_DEP_2) | instskip(NEXT) | instid1(VALU_DEP_2)
	v_cndmask_b32_e64 v53, v3, v0, s14
	v_pk_mul_f32 v[4:5], v[18:19], v[24:25]
	v_dual_cndmask_b32 v105, v67, v62 :: v_dual_cndmask_b32 v104, v66, v56
	v_cmp_le_f32_e32 vcc_lo, 0, v19
	v_add_f32_e32 v56, v20, v23
	scratch_store_b64 off, v[4:5], off offset:44 ; 8-byte Folded Spill
	v_and_b32_e32 v66, 0x7fffffff, v21
	v_mul_f32_e32 v67, 0x40490fdb, v20
	v_cndmask_b32_e64 v0, 0, 2, vcc_lo
	v_cmp_le_f32_e32 vcc_lo, 0, v18
	v_and_b32_e32 v57, 0x7fffffff, v56
	v_and_or_b32 v14, v66, s31, 0x800000
	v_cmp_gt_f32_e64 s7, 0x48000000, |v56|
	v_cmp_class_f32_e64 s12, v56, 0x1f8
	v_cndmask_b32_e64 v3, 0, 1, vcc_lo
	v_cmp_gt_f32_e32 vcc_lo, 0xf800000, v20
	v_mul_u64_e32 v[24:25], s[28:29], v[14:15]
	s_delay_alu instid0(VALU_DEP_3) | instskip(SKIP_1) | instid1(VALU_DEP_1)
	v_or_b32_e32 v82, v0, v3
	v_mul_f32_e32 v0, 0x4f800000, v20
	v_cndmask_b32_e32 v0, v20, v0, vcc_lo
	s_delay_alu instid0(VALU_DEP_1) | instskip(SKIP_2) | instid1(TRANS32_DEP_1)
	v_sqrt_f32_e32 v3, v0
	s_wait_xcnt 0x0
	v_nop
	v_add_nc_u32_e32 v4, -1, v3
	s_delay_alu instid0(VALU_DEP_1) | instskip(NEXT) | instid1(VALU_DEP_1)
	v_fma_f32 v5, -v4, v3, v0
	v_cmp_ge_f32_e64 s0, 0, v5
	v_dual_mov_b32 v32, v25 :: v_dual_add_nc_u32 v5, 1, v3
	s_delay_alu instid0(VALU_DEP_1) | instskip(NEXT) | instid1(VALU_DEP_2)
	v_dual_cndmask_b32 v4, v3, v4, s0 :: v_dual_fma_f32 v3, -v5, v3, v0
	v_mad_nc_u64_u32 v[32:33], 0x3c439041, v14, v[32:33]
	s_delay_alu instid0(VALU_DEP_2) | instskip(NEXT) | instid1(VALU_DEP_1)
	v_cmp_lt_f32_e64 s0, 0, v3
	v_dual_cndmask_b32 v3, v4, v5, s0 :: v_dual_mov_b32 v62, v33
	s_delay_alu instid0(VALU_DEP_1) | instskip(NEXT) | instid1(VALU_DEP_2)
	v_dual_mov_b32 v33, v15 :: v_dual_mul_f32 v4, 0x37800000, v3
	v_mad_nc_u64_u32 v[62:63], 0xdb629599, v14, v[62:63]
	s_delay_alu instid0(VALU_DEP_2) | instskip(SKIP_1) | instid1(VALU_DEP_1)
	v_cndmask_b32_e32 v3, v3, v4, vcc_lo
	v_cmp_class_f32_e64 vcc_lo, v0, 0x260
	v_dual_cndmask_b32 v30, v3, v0, vcc_lo :: v_dual_mul_f32 v0, 0.5, v23
	s_delay_alu instid0(VALU_DEP_4)
	v_mov_b32_e32 v68, v63
	v_cmp_gt_f32_e64 vcc_lo, 0x48000000, |v21|
	v_mov_b32_e32 v63, v15
	scratch_store_b32 off, v0, off offset:40 ; 4-byte Folded Spill
	s_wait_xcnt 0x0
	v_lshrrev_b32_e32 v0, 23, v66
	v_mad_nc_u64_u32 v[68:69], 0xf534ddc0, v14, v[68:69]
	s_delay_alu instid0(VALU_DEP_2) | instskip(NEXT) | instid1(VALU_DEP_1)
	v_add_nc_u32_e32 v0, 0xffffff88, v0
	v_cmp_lt_u32_e64 s0, 63, v0
	s_delay_alu instid0(VALU_DEP_3) | instskip(NEXT) | instid1(VALU_DEP_2)
	v_mov_b32_e32 v74, v69
	v_cndmask_b32_e64 v3, 0, 0xffffffc0, s0
	s_delay_alu instid0(VALU_DEP_2) | instskip(NEXT) | instid1(VALU_DEP_2)
	v_mad_nc_u64_u32 v[74:75], 0xfc2757d1, v14, v[74:75]
	v_add_nc_u32_e32 v0, v3, v0
	s_delay_alu instid0(VALU_DEP_1) | instskip(NEXT) | instid1(VALU_DEP_3)
	v_cmp_lt_u32_e64 s1, 31, v0
	v_dual_mov_b32 v80, v75 :: v_dual_mul_f32 v75, v20, v23
	s_delay_alu instid0(VALU_DEP_2) | instskip(NEXT) | instid1(VALU_DEP_2)
	v_cndmask_b32_e64 v3, 0, 0xffffffe0, s1
	v_mad_nc_u64_u32 v[80:81], 0x4e441529, v14, v[80:81]
	s_delay_alu instid0(VALU_DEP_3) | instskip(NEXT) | instid1(VALU_DEP_3)
	v_cmp_gt_f32_e64 s6, 0x48000000, |v75|
	v_add_nc_u32_e32 v0, v3, v0
	s_delay_alu instid0(VALU_DEP_1) | instskip(NEXT) | instid1(VALU_DEP_4)
	v_cmp_lt_u32_e64 s2, 31, v0
	v_mov_b32_e32 v88, v81
	s_delay_alu instid0(VALU_DEP_2) | instskip(SKIP_1) | instid1(VALU_DEP_3)
	v_cndmask_b32_e64 v3, 0, 0xffffffe0, s2
	v_mov_b32_e32 v81, v15
	v_mad_nc_u64_u32 v[88:89], 0xa2f9836e, v14, v[88:89]
	s_delay_alu instid0(VALU_DEP_3) | instskip(SKIP_2) | instid1(VALU_DEP_3)
	v_add_nc_u32_e32 v0, v3, v0
	v_cndmask_b32_e64 v3, v80, v68, s0
	v_cndmask_b32_e64 v14, v62, v24, s0
	v_cmp_eq_u32_e64 s3, 0, v0
	v_dual_sub_nc_u32 v0, 32, v0 :: v_dual_cndmask_b32 v4, v88, v74, s0
	v_cndmask_b32_e64 v6, v89, v80, s0
	v_and_b32_e32 v89, 0x7fffffff, v75
	s_delay_alu instid0(VALU_DEP_2) | instskip(NEXT) | instid1(VALU_DEP_1)
	v_dual_cndmask_b32 v5, v4, v3, s1 :: v_dual_cndmask_b32 v4, v6, v4, s1
	v_dual_cndmask_b32 v6, v74, v62, s0 :: v_dual_cndmask_b32 v4, v4, v5, s2
	s_delay_alu instid0(VALU_DEP_1) | instskip(NEXT) | instid1(VALU_DEP_1)
	v_cndmask_b32_e64 v3, v3, v6, s1
	v_cndmask_b32_e64 v5, v5, v3, s2
	s_delay_alu instid0(VALU_DEP_1) | instskip(NEXT) | instid1(VALU_DEP_1)
	v_alignbit_b32 v7, v4, v5, v0
	v_cndmask_b32_e64 v4, v7, v4, s3
	v_cndmask_b32_e64 v7, v68, v32, s0
	v_and_b32_e32 v68, 0x7fffffff, v67
	s_delay_alu instid0(VALU_DEP_3) | instskip(NEXT) | instid1(VALU_DEP_3)
	v_bfe_u32 v10, v4, 29, 1
	v_dual_cndmask_b32 v6, v6, v7, s1 :: v_dual_lshrrev_b32 v9, 29, v4
	s_delay_alu instid0(VALU_DEP_2) | instskip(NEXT) | instid1(VALU_DEP_2)
	v_sub_nc_u32_e32 v11, 0, v10
	v_cndmask_b32_e64 v3, v3, v6, s2
	v_cndmask_b32_e64 v7, v7, v14, s1
	v_and_or_b32 v14, v57, s31, 0x800000
	s_delay_alu instid0(VALU_DEP_3) | instskip(NEXT) | instid1(VALU_DEP_2)
	v_alignbit_b32 v8, v5, v3, v0
	v_mul_u64_e32 v[24:25], s[28:29], v[14:15]
	s_delay_alu instid0(VALU_DEP_2) | instskip(NEXT) | instid1(VALU_DEP_1)
	v_dual_cndmask_b32 v5, v8, v5, s3 :: v_dual_cndmask_b32 v6, v6, v7, s2
	v_alignbit_b32 v8, v4, v5, 30
	s_delay_alu instid0(VALU_DEP_2) | instskip(NEXT) | instid1(VALU_DEP_2)
	v_alignbit_b32 v0, v3, v6, v0
	v_xor_b32_e32 v8, v8, v11
	s_delay_alu instid0(VALU_DEP_2) | instskip(SKIP_1) | instid1(VALU_DEP_2)
	v_cndmask_b32_e64 v0, v0, v3, s3
	v_cmp_class_f32_e64 s3, v20, 0x1f8
	v_alignbit_b32 v3, v5, v0, 30
	s_delay_alu instid0(VALU_DEP_4) | instskip(NEXT) | instid1(VALU_DEP_2)
	v_clz_i32_u32_e32 v5, v8
	v_xor_b32_e32 v3, v3, v11
	s_delay_alu instid0(VALU_DEP_2) | instskip(NEXT) | instid1(VALU_DEP_1)
	v_min_u32_e32 v5, 32, v5
	v_sub_nc_u32_e32 v7, 31, v5
	v_alignbit_b32 v0, v0, v6, 30
	v_dual_mov_b32 v32, v25 :: v_dual_mov_b32 v25, v15
	s_delay_alu instid0(VALU_DEP_3) | instskip(NEXT) | instid1(VALU_DEP_3)
	v_alignbit_b32 v8, v8, v3, v7
	v_xor_b32_e32 v0, v0, v11
	s_delay_alu instid0(VALU_DEP_3) | instskip(NEXT) | instid1(VALU_DEP_2)
	v_mad_nc_u64_u32 v[32:33], 0x3c439041, v14, v[32:33]
	v_alignbit_b32 v0, v3, v0, v7
	s_delay_alu instid0(VALU_DEP_1) | instskip(NEXT) | instid1(VALU_DEP_3)
	v_alignbit_b32 v3, v8, v0, 9
	v_mov_b32_e32 v62, v33
	s_delay_alu instid0(VALU_DEP_2) | instskip(NEXT) | instid1(VALU_DEP_2)
	v_clz_i32_u32_e32 v6, v3
	v_mad_nc_u64_u32 v[62:63], 0xdb629599, v14, v[62:63]
	s_delay_alu instid0(VALU_DEP_2) | instskip(NEXT) | instid1(VALU_DEP_1)
	v_min_u32_e32 v6, 32, v6
	v_not_b32_e32 v7, v6
	v_add_lshl_u32 v6, v6, v5, 23
	s_delay_alu instid0(VALU_DEP_4) | instskip(SKIP_1) | instid1(VALU_DEP_4)
	v_dual_mov_b32 v80, v63 :: v_dual_lshlrev_b32 v5, 23, v5
	v_mov_b32_e32 v63, v15
	v_alignbit_b32 v0, v3, v0, v7
	v_lshlrev_b32_e32 v3, 31, v9
	s_delay_alu instid0(VALU_DEP_4) | instskip(NEXT) | instid1(VALU_DEP_3)
	v_mad_nc_u64_u32 v[80:81], 0xf534ddc0, v14, v[80:81]
	v_lshrrev_b32_e32 v0, 9, v0
	s_delay_alu instid0(VALU_DEP_3) | instskip(NEXT) | instid1(VALU_DEP_1)
	v_or_b32_e32 v7, 0x33000000, v3
	v_dual_sub_nc_u32 v6, v7, v6 :: v_dual_bitop2_b32 v3, 0.5, v3 bitop3:0x54
	s_delay_alu instid0(VALU_DEP_1) | instskip(NEXT) | instid1(VALU_DEP_2)
	v_dual_mov_b32 v90, v81 :: v_dual_sub_nc_u32 v3, v3, v5
	v_dual_mov_b32 v81, v15 :: v_dual_bitop2_b32 v0, v6, v0 bitop3:0x54
	v_lshrrev_b32_e32 v6, 9, v8
	s_delay_alu instid0(VALU_DEP_3) | instskip(NEXT) | instid1(VALU_DEP_2)
	v_mad_nc_u64_u32 v[90:91], 0xfc2757d1, v14, v[90:91]
	v_or_b32_e32 v3, v6, v3
	s_delay_alu instid0(VALU_DEP_1) | instskip(SKIP_1) | instid1(VALU_DEP_2)
	v_dual_mul_f32 v5, 0x3fc90fda, v3 :: v_dual_mov_b32 v92, v91
	v_mov_b32_e32 v91, v15
	v_fma_f32 v6, 0x3fc90fda, v3, -v5
	s_delay_alu instid0(VALU_DEP_1) | instskip(SKIP_1) | instid1(VALU_DEP_2)
	v_dual_fmac_f32 v6, 0x33a22168, v3 :: v_dual_lshrrev_b32 v3, 30, v4
	v_mul_f32_e64 v4, 0x3f22f983, |v21|
	v_fmac_f32_e32 v6, 0x3fc90fda, v0
	s_delay_alu instid0(VALU_DEP_2) | instskip(NEXT) | instid1(VALU_DEP_2)
	v_rndne_f32_e32 v4, v4
	v_add_f32_e32 v0, v5, v6
	s_delay_alu instid0(VALU_DEP_2) | instskip(NEXT) | instid1(VALU_DEP_1)
	v_fma_f32 v5, 0xbfc90fda, v4, |v21|
	v_fmac_f32_e32 v5, 0xb3a22168, v4
	s_delay_alu instid0(VALU_DEP_1) | instskip(SKIP_2) | instid1(VALU_DEP_3)
	v_fmac_f32_e32 v5, 0xa7c234c4, v4
	v_add_nc_u32_e32 v3, v10, v3
	v_cvt_i32_f32_e32 v4, v4
	v_cndmask_b32_e32 v69, v0, v5, vcc_lo
	s_delay_alu instid0(VALU_DEP_1) | instskip(NEXT) | instid1(VALU_DEP_1)
	v_dual_mul_f32 v0, v69, v69 :: v_dual_cndmask_b32 v87, v3, v4
	v_fmaak_f32 v3, s30, v0, 0x3c0881c4
	s_delay_alu instid0(VALU_DEP_1) | instskip(NEXT) | instid1(VALU_DEP_1)
	v_fmaak_f32 v3, v0, v3, 0xbe2aaa9d
	v_mul_f32_e32 v3, v0, v3
	s_delay_alu instid0(VALU_DEP_1) | instskip(SKIP_1) | instid1(VALU_DEP_1)
	v_fmac_f32_e32 v69, v69, v3
	v_fmaak_f32 v3, s34, v0, 0xbab64f3b
	v_fmaak_f32 v3, v0, v3, 0x3d2aabf7
	s_delay_alu instid0(VALU_DEP_1) | instskip(NEXT) | instid1(VALU_DEP_1)
	v_fmaak_f32 v3, v0, v3, 0xbf000004
	v_fma_f32 v74, v0, v3, 1.0
	v_and_b32_e32 v0, 1, v87
	s_delay_alu instid0(VALU_DEP_1) | instskip(SKIP_1) | instid1(VALU_DEP_1)
	v_cmp_eq_u32_e64 s4, 0, v0
	v_lshrrev_b32_e32 v0, 23, v57
	v_add_nc_u32_e32 v0, 0xffffff88, v0
	s_delay_alu instid0(VALU_DEP_3) | instskip(NEXT) | instid1(VALU_DEP_2)
	v_cndmask_b32_e64 v88, -v69, v74, s4
	v_cmp_lt_u32_e32 vcc_lo, 63, v0
	v_mov_b32_e32 v93, v15
	v_cndmask_b32_e64 v3, 0, 0xffffffc0, vcc_lo
	s_delay_alu instid0(VALU_DEP_2) | instskip(NEXT) | instid1(VALU_DEP_1)
	v_mad_nc_u64_u32 v[92:93], 0x4e441529, v14, v[92:93]
	v_dual_add_nc_u32 v0, v3, v0 :: v_dual_mov_b32 v94, v93
	s_delay_alu instid0(VALU_DEP_1) | instskip(SKIP_1) | instid1(VALU_DEP_2)
	v_cmp_lt_u32_e64 s0, 31, v0
	v_dual_mov_b32 v95, v15 :: v_dual_mov_b32 v93, v15
	v_cndmask_b32_e64 v3, 0, 0xffffffe0, s0
	s_delay_alu instid0(VALU_DEP_2) | instskip(SKIP_1) | instid1(VALU_DEP_2)
	v_mad_nc_u64_u32 v[94:95], 0xa2f9836e, v14, v[94:95]
	v_cndmask_b32_e32 v14, v62, v24, vcc_lo
	v_dual_add_nc_u32 v0, v3, v0 :: v_dual_cndmask_b32 v4, v94, v90, vcc_lo
	s_delay_alu instid0(VALU_DEP_1) | instskip(NEXT) | instid1(VALU_DEP_1)
	v_cmp_lt_u32_e64 s1, 31, v0
	v_cndmask_b32_e64 v3, 0, 0xffffffe0, s1
	s_delay_alu instid0(VALU_DEP_1) | instskip(SKIP_1) | instid1(VALU_DEP_1)
	v_add_nc_u32_e32 v0, v3, v0
	v_cndmask_b32_e32 v3, v92, v80, vcc_lo
	v_dual_cndmask_b32 v5, v4, v3, s0 :: v_dual_cndmask_b32 v6, v95, v92, vcc_lo
	s_delay_alu instid0(VALU_DEP_3) | instskip(SKIP_1) | instid1(VALU_DEP_3)
	v_cmp_eq_u32_e64 s2, 0, v0
	v_dual_mov_b32 v95, v15 :: v_dual_sub_nc_u32 v0, 32, v0
	v_cndmask_b32_e64 v4, v6, v4, s0
	s_delay_alu instid0(VALU_DEP_1) | instskip(NEXT) | instid1(VALU_DEP_1)
	v_dual_cndmask_b32 v6, v90, v62, vcc_lo :: v_dual_cndmask_b32 v4, v4, v5, s1
	v_cndmask_b32_e64 v3, v3, v6, s0
	s_delay_alu instid0(VALU_DEP_1) | instskip(NEXT) | instid1(VALU_DEP_1)
	v_cndmask_b32_e64 v5, v5, v3, s1
	v_alignbit_b32 v7, v4, v5, v0
	s_delay_alu instid0(VALU_DEP_1) | instskip(SKIP_1) | instid1(VALU_DEP_1)
	v_cndmask_b32_e64 v4, v7, v4, s2
	v_cndmask_b32_e32 v7, v80, v32, vcc_lo
	v_cndmask_b32_e64 v6, v6, v7, s0
	s_delay_alu instid0(VALU_DEP_3) | instskip(NEXT) | instid1(VALU_DEP_2)
	v_bfe_u32 v10, v4, 29, 1
	v_dual_lshrrev_b32 v9, 29, v4 :: v_dual_cndmask_b32 v3, v3, v6, s1
	s_delay_alu instid0(VALU_DEP_2) | instskip(SKIP_2) | instid1(VALU_DEP_4)
	v_sub_nc_u32_e32 v11, 0, v10
	v_cndmask_b32_e64 v7, v7, v14, s0
	v_and_or_b32 v14, v40, s31, 0x800000
	v_alignbit_b32 v8, v5, v3, v0
	s_delay_alu instid0(VALU_DEP_3) | instskip(NEXT) | instid1(VALU_DEP_3)
	v_cndmask_b32_e64 v6, v6, v7, s1
	v_mul_u64_e32 v[32:33], s[28:29], v[14:15]
	s_delay_alu instid0(VALU_DEP_3) | instskip(NEXT) | instid1(VALU_DEP_3)
	v_cndmask_b32_e64 v5, v8, v5, s2
	v_alignbit_b32 v0, v3, v6, v0
	s_delay_alu instid0(VALU_DEP_2) | instskip(NEXT) | instid1(VALU_DEP_2)
	v_alignbit_b32 v8, v4, v5, 30
	v_cndmask_b32_e64 v0, v0, v3, s2
	s_delay_alu instid0(VALU_DEP_2) | instskip(NEXT) | instid1(VALU_DEP_2)
	v_xor_b32_e32 v8, v8, v11
	v_alignbit_b32 v3, v5, v0, 30
	s_delay_alu instid0(VALU_DEP_2) | instskip(NEXT) | instid1(VALU_DEP_2)
	v_clz_i32_u32_e32 v5, v8
	v_xor_b32_e32 v3, v3, v11
	s_delay_alu instid0(VALU_DEP_2) | instskip(NEXT) | instid1(VALU_DEP_1)
	v_min_u32_e32 v5, 32, v5
	v_sub_nc_u32_e32 v7, 31, v5
	v_alignbit_b32 v0, v0, v6, 30
	s_delay_alu instid0(VALU_DEP_2) | instskip(NEXT) | instid1(VALU_DEP_2)
	v_alignbit_b32 v8, v8, v3, v7
	v_dual_mov_b32 v24, v33 :: v_dual_bitop2_b32 v0, v0, v11 bitop3:0x14
	v_mov_b32_e32 v11, v15
	s_delay_alu instid0(VALU_DEP_2) | instskip(NEXT) | instid1(VALU_DEP_3)
	v_alignbit_b32 v0, v3, v0, v7
	v_mad_nc_u64_u32 v[24:25], 0x3c439041, v14, v[24:25]
	s_delay_alu instid0(VALU_DEP_2) | instskip(NEXT) | instid1(VALU_DEP_1)
	v_alignbit_b32 v3, v8, v0, 9
	v_clz_i32_u32_e32 v6, v3
	s_delay_alu instid0(VALU_DEP_3) | instskip(NEXT) | instid1(VALU_DEP_2)
	v_mov_b32_e32 v62, v25
	v_min_u32_e32 v6, 32, v6
	s_delay_alu instid0(VALU_DEP_2) | instskip(NEXT) | instid1(VALU_DEP_2)
	v_mad_nc_u64_u32 v[62:63], 0xdb629599, v14, v[62:63]
	v_not_b32_e32 v7, v6
	v_add_lshl_u32 v6, v6, v5, 23
	v_lshlrev_b32_e32 v5, 23, v5
	s_delay_alu instid0(VALU_DEP_3) | instskip(SKIP_1) | instid1(VALU_DEP_2)
	v_alignbit_b32 v0, v3, v0, v7
	v_dual_mov_b32 v80, v63 :: v_dual_lshlrev_b32 v3, 31, v9
	v_dual_mov_b32 v63, v15 :: v_dual_lshrrev_b32 v0, 9, v0
	s_delay_alu instid0(VALU_DEP_2) | instskip(SKIP_1) | instid1(VALU_DEP_4)
	v_or_b32_e32 v7, 0x33000000, v3
	v_or_b32_e32 v3, 0.5, v3
	v_mad_nc_u64_u32 v[80:81], 0xf534ddc0, v14, v[80:81]
	s_delay_alu instid0(VALU_DEP_3) | instskip(NEXT) | instid1(VALU_DEP_1)
	v_sub_nc_u32_e32 v6, v7, v6
	v_or_b32_e32 v0, v6, v0
	s_delay_alu instid0(VALU_DEP_4) | instskip(NEXT) | instid1(VALU_DEP_1)
	v_dual_lshrrev_b32 v6, 9, v8 :: v_dual_sub_nc_u32 v3, v3, v5
	v_dual_mov_b32 v90, v81 :: v_dual_bitop2_b32 v3, v6, v3 bitop3:0x54
	s_delay_alu instid0(VALU_DEP_1) | instskip(NEXT) | instid1(VALU_DEP_2)
	v_mad_nc_u64_u32 v[90:91], 0xfc2757d1, v14, v[90:91]
	v_mul_f32_e32 v5, 0x3fc90fda, v3
	s_delay_alu instid0(VALU_DEP_1) | instskip(NEXT) | instid1(VALU_DEP_3)
	v_fma_f32 v6, 0x3fc90fda, v3, -v5
	v_dual_mov_b32 v92, v91 :: v_dual_mov_b32 v91, v15
	s_delay_alu instid0(VALU_DEP_2) | instskip(NEXT) | instid1(VALU_DEP_2)
	v_fmac_f32_e32 v6, 0x33a22168, v3
	v_mad_nc_u64_u32 v[92:93], 0x4e441529, v14, v[92:93]
	s_delay_alu instid0(VALU_DEP_2) | instskip(NEXT) | instid1(VALU_DEP_1)
	v_fmac_f32_e32 v6, 0x3fc90fda, v0
	v_dual_lshrrev_b32 v0, 30, v4 :: v_dual_add_f32 v98, v5, v6
	s_delay_alu instid0(VALU_DEP_1) | instskip(SKIP_2) | instid1(VALU_DEP_2)
	v_add_nc_u32_e32 v99, v10, v0
	v_mul_f32_e64 v0, 0x3f22f983, |v56|
	v_dual_mov_b32 v94, v93 :: v_dual_mov_b32 v93, v15
	v_rndne_f32_e32 v0, v0
	s_delay_alu instid0(VALU_DEP_2) | instskip(SKIP_1) | instid1(VALU_DEP_3)
	v_mad_nc_u64_u32 v[94:95], 0xa2f9836e, v14, v[94:95]
	v_and_or_b32 v14, v68, s31, 0x800000
	v_fma_f32 v100, 0xbfc90fda, v0, |v56|
	v_cvt_i32_f32_e32 v101, v0
	s_delay_alu instid0(VALU_DEP_2) | instskip(NEXT) | instid1(VALU_DEP_1)
	v_fmac_f32_e32 v100, 0xb3a22168, v0
	v_fmac_f32_e32 v100, 0xa7c234c4, v0
	v_lshrrev_b32_e32 v0, 23, v40
	s_delay_alu instid0(VALU_DEP_1) | instskip(NEXT) | instid1(VALU_DEP_1)
	v_add_nc_u32_e32 v0, 0xffffff88, v0
	v_cmp_lt_u32_e32 vcc_lo, 63, v0
	v_cndmask_b32_e64 v3, 0, 0xffffffc0, vcc_lo
	v_dual_cndmask_b32 v4, v94, v90, vcc_lo :: v_dual_cndmask_b32 v6, v95, v92, vcc_lo
	v_mov_b32_e32 v95, v15
	s_delay_alu instid0(VALU_DEP_3) | instskip(NEXT) | instid1(VALU_DEP_1)
	v_add_nc_u32_e32 v0, v3, v0
	v_cmp_lt_u32_e64 s0, 31, v0
	s_delay_alu instid0(VALU_DEP_1) | instskip(NEXT) | instid1(VALU_DEP_1)
	v_cndmask_b32_e64 v3, 0, 0xffffffe0, s0
	v_add_nc_u32_e32 v0, v3, v0
	s_delay_alu instid0(VALU_DEP_1) | instskip(NEXT) | instid1(VALU_DEP_1)
	v_cmp_lt_u32_e64 s1, 31, v0
	v_cndmask_b32_e64 v3, 0, 0xffffffe0, s1
	s_delay_alu instid0(VALU_DEP_1) | instskip(SKIP_1) | instid1(VALU_DEP_2)
	v_add_nc_u32_e32 v0, v3, v0
	v_cndmask_b32_e32 v3, v92, v80, vcc_lo
	v_cmp_eq_u32_e64 s2, 0, v0
	s_delay_alu instid0(VALU_DEP_2) | instskip(SKIP_1) | instid1(VALU_DEP_1)
	v_dual_cndmask_b32 v5, v4, v3, s0 :: v_dual_cndmask_b32 v4, v6, v4, s0
	v_dual_cndmask_b32 v6, v90, v62, vcc_lo :: v_dual_sub_nc_u32 v0, 32, v0
	v_dual_cndmask_b32 v4, v4, v5, s1 :: v_dual_cndmask_b32 v3, v3, v6, s0
	s_delay_alu instid0(VALU_DEP_1) | instskip(NEXT) | instid1(VALU_DEP_1)
	v_cndmask_b32_e64 v5, v5, v3, s1
	v_alignbit_b32 v7, v4, v5, v0
	s_delay_alu instid0(VALU_DEP_1) | instskip(NEXT) | instid1(VALU_DEP_1)
	v_cndmask_b32_e64 v25, v7, v4, s2
	v_dual_cndmask_b32 v4, v80, v24, vcc_lo :: v_dual_lshrrev_b32 v126, 30, v25
	s_delay_alu instid0(VALU_DEP_1) | instskip(NEXT) | instid1(VALU_DEP_1)
	v_cndmask_b32_e64 v6, v6, v4, s0
	v_cndmask_b32_e64 v3, v3, v6, s1
	s_delay_alu instid0(VALU_DEP_1) | instskip(NEXT) | instid1(VALU_DEP_1)
	v_alignbit_b32 v7, v5, v3, v0
	v_dual_cndmask_b32 v24, v7, v5, s2 :: v_dual_cndmask_b32 v5, v62, v32, vcc_lo
	v_mul_u64_e32 v[32:33], s[28:29], v[14:15]
	s_delay_alu instid0(VALU_DEP_2) | instskip(NEXT) | instid1(VALU_DEP_1)
	v_cndmask_b32_e64 v4, v4, v5, s0
	v_cndmask_b32_e64 v4, v6, v4, s1
	s_delay_alu instid0(VALU_DEP_1) | instskip(NEXT) | instid1(VALU_DEP_1)
	v_alignbit_b32 v0, v3, v4, v0
	v_dual_cndmask_b32 v80, v0, v3, s2 :: v_dual_lshrrev_b32 v0, 23, v68
	s_delay_alu instid0(VALU_DEP_1) | instskip(NEXT) | instid1(VALU_DEP_2)
	v_alignbit_b32 v127, v80, v4, 30
	v_add_nc_u32_e32 v0, 0xffffff88, v0
	s_delay_alu instid0(VALU_DEP_1) | instskip(SKIP_3) | instid1(VALU_DEP_3)
	v_cmp_lt_u32_e32 vcc_lo, 63, v0
	v_dual_mov_b32 v62, v33 :: v_dual_mov_b32 v33, v15
	v_cmp_gt_f32_e64 s2, 0x48000000, |v67|
	v_cndmask_b32_e64 v3, 0, 0xffffffc0, vcc_lo
	v_mad_nc_u64_u32 v[62:63], 0x3c439041, v14, v[62:63]
	s_delay_alu instid0(VALU_DEP_1) | instskip(NEXT) | instid1(VALU_DEP_1)
	v_dual_mov_b32 v90, v63 :: v_dual_mov_b32 v63, v15
	v_mad_nc_u64_u32 v[90:91], 0xdb629599, v14, v[90:91]
	s_delay_alu instid0(VALU_DEP_1) | instskip(NEXT) | instid1(VALU_DEP_1)
	v_mov_b32_e32 v92, v91
	v_mad_nc_u64_u32 v[92:93], 0xf534ddc0, v14, v[92:93]
	s_delay_alu instid0(VALU_DEP_1) | instskip(NEXT) | instid1(VALU_DEP_1)
	v_dual_add_nc_u32 v0, v3, v0 :: v_dual_mov_b32 v94, v93
	v_cmp_lt_u32_e64 s0, 31, v0
	s_delay_alu instid0(VALU_DEP_2) | instskip(NEXT) | instid1(VALU_DEP_2)
	v_mad_nc_u64_u32 v[94:95], 0xfc2757d1, v14, v[94:95]
	v_cndmask_b32_e64 v3, 0, 0xffffffe0, s0
	s_delay_alu instid0(VALU_DEP_2) | instskip(NEXT) | instid1(VALU_DEP_1)
	v_dual_mov_b32 v96, v95 :: v_dual_mov_b32 v95, v15
	v_mad_nc_u64_u32 v[96:97], 0x4e441529, v14, v[96:97]
	s_delay_alu instid0(VALU_DEP_1) | instskip(NEXT) | instid1(VALU_DEP_1)
	v_dual_add_nc_u32 v0, v3, v0 :: v_dual_mov_b32 v10, v97
	v_cmp_lt_u32_e64 s1, 31, v0
	v_mov_b32_e32 v97, v15
	s_delay_alu instid0(VALU_DEP_3) | instskip(NEXT) | instid1(VALU_DEP_3)
	v_mad_nc_u64_u32 v[10:11], 0xa2f9836e, v14, v[10:11]
	v_cndmask_b32_e64 v3, 0, 0xffffffe0, s1
	v_cndmask_b32_e32 v14, v90, v32, vcc_lo
	s_delay_alu instid0(VALU_DEP_2) | instskip(NEXT) | instid1(VALU_DEP_4)
	v_add_nc_u32_e32 v0, v3, v0
	v_dual_cndmask_b32 v3, v96, v92 :: v_dual_cndmask_b32 v4, v10, v94
	v_cndmask_b32_e32 v6, v11, v96, vcc_lo
	s_delay_alu instid0(VALU_DEP_3) | instskip(NEXT) | instid1(VALU_DEP_3)
	v_cmp_eq_u32_e64 s5, 0, v0
	v_dual_sub_nc_u32 v0, 32, v0 :: v_dual_cndmask_b32 v5, v4, v3, s0
	s_delay_alu instid0(VALU_DEP_3) | instskip(SKIP_1) | instid1(VALU_DEP_1)
	v_cndmask_b32_e64 v4, v6, v4, s0
	v_cndmask_b32_e32 v6, v94, v90, vcc_lo
	v_dual_cndmask_b32 v3, v3, v6, s0 :: v_dual_cndmask_b32 v4, v4, v5, s1
	s_delay_alu instid0(VALU_DEP_1) | instskip(NEXT) | instid1(VALU_DEP_1)
	v_cndmask_b32_e64 v5, v5, v3, s1
	v_alignbit_b32 v7, v4, v5, v0
	s_delay_alu instid0(VALU_DEP_1) | instskip(NEXT) | instid1(VALU_DEP_1)
	v_dual_cndmask_b32 v4, v7, v4, s5 :: v_dual_cndmask_b32 v7, v92, v62, vcc_lo
	v_cndmask_b32_e64 v6, v6, v7, s0
	s_delay_alu instid0(VALU_DEP_2) | instskip(NEXT) | instid1(VALU_DEP_2)
	v_bfe_u32 v10, v4, 29, 1
	v_dual_lshrrev_b32 v9, 29, v4 :: v_dual_cndmask_b32 v3, v3, v6, s1
	s_delay_alu instid0(VALU_DEP_2) | instskip(NEXT) | instid1(VALU_DEP_2)
	v_sub_nc_u32_e32 v11, 0, v10
	v_alignbit_b32 v8, v5, v3, v0
	s_delay_alu instid0(VALU_DEP_1) | instskip(SKIP_1) | instid1(VALU_DEP_2)
	v_dual_cndmask_b32 v5, v8, v5, s5 :: v_dual_cndmask_b32 v7, v7, v14, s0
	v_and_or_b32 v14, v89, s31, 0x800000
	v_alignbit_b32 v8, v4, v5, 30
	s_delay_alu instid0(VALU_DEP_3) | instskip(NEXT) | instid1(VALU_DEP_2)
	v_cndmask_b32_e64 v6, v6, v7, s1
	v_xor_b32_e32 v8, v8, v11
	s_delay_alu instid0(VALU_DEP_2) | instskip(NEXT) | instid1(VALU_DEP_1)
	v_alignbit_b32 v0, v3, v6, v0
	v_cndmask_b32_e64 v0, v0, v3, s5
	v_cmp_class_f32_e64 s5, v67, 0x1f8
	s_delay_alu instid0(VALU_DEP_2) | instskip(SKIP_1) | instid1(VALU_DEP_2)
	v_alignbit_b32 v3, v5, v0, 30
	v_clz_i32_u32_e32 v5, v8
	v_xor_b32_e32 v3, v3, v11
	s_delay_alu instid0(VALU_DEP_2) | instskip(NEXT) | instid1(VALU_DEP_1)
	v_min_u32_e32 v5, 32, v5
	v_sub_nc_u32_e32 v7, 31, v5
	v_alignbit_b32 v0, v0, v6, 30
	s_delay_alu instid0(VALU_DEP_2) | instskip(NEXT) | instid1(VALU_DEP_2)
	v_alignbit_b32 v8, v8, v3, v7
	v_xor_b32_e32 v0, v0, v11
	s_delay_alu instid0(VALU_DEP_1) | instskip(NEXT) | instid1(VALU_DEP_1)
	v_alignbit_b32 v0, v3, v0, v7
	v_alignbit_b32 v3, v8, v0, 9
	s_delay_alu instid0(VALU_DEP_1) | instskip(NEXT) | instid1(VALU_DEP_1)
	v_clz_i32_u32_e32 v6, v3
	v_min_u32_e32 v6, 32, v6
	s_delay_alu instid0(VALU_DEP_1) | instskip(SKIP_2) | instid1(VALU_DEP_3)
	v_not_b32_e32 v7, v6
	v_add_lshl_u32 v6, v6, v5, 23
	v_lshlrev_b32_e32 v5, 23, v5
	v_alignbit_b32 v0, v3, v0, v7
	v_dual_lshlrev_b32 v3, 31, v9 :: v_dual_mov_b32 v9, v15
	s_delay_alu instid0(VALU_DEP_2) | instskip(NEXT) | instid1(VALU_DEP_2)
	v_lshrrev_b32_e32 v0, 9, v0
	v_or_b32_e32 v7, 0x33000000, v3
	s_delay_alu instid0(VALU_DEP_1) | instskip(NEXT) | instid1(VALU_DEP_1)
	v_dual_sub_nc_u32 v6, v7, v6 :: v_dual_bitop2_b32 v3, 0.5, v3 bitop3:0x54
	v_dual_sub_nc_u32 v3, v3, v5 :: v_dual_bitop2_b32 v0, v6, v0 bitop3:0x54
	v_lshrrev_b32_e32 v6, 9, v8
	s_delay_alu instid0(VALU_DEP_1) | instskip(NEXT) | instid1(VALU_DEP_1)
	v_or_b32_e32 v3, v6, v3
	v_mul_f32_e32 v5, 0x3fc90fda, v3
	s_delay_alu instid0(VALU_DEP_1) | instskip(NEXT) | instid1(VALU_DEP_1)
	v_fma_f32 v6, 0x3fc90fda, v3, -v5
	v_fmac_f32_e32 v6, 0x33a22168, v3
	s_delay_alu instid0(VALU_DEP_1) | instskip(NEXT) | instid1(VALU_DEP_1)
	v_fmac_f32_e32 v6, 0x3fc90fda, v0
	v_dual_lshrrev_b32 v0, 30, v4 :: v_dual_add_f32 v90, v5, v6
	s_delay_alu instid0(VALU_DEP_1) | instskip(SKIP_3) | instid1(VALU_DEP_2)
	v_add_nc_u32_e32 v91, v10, v0
	v_mul_u64_e32 v[10:11], s[28:29], v[14:15]
	v_mul_f32_e64 v0, 0x3f22f983, |v67|
	v_mov_b32_e32 v5, v15
	v_rndne_f32_e32 v0, v0
	s_delay_alu instid0(VALU_DEP_1) | instskip(SKIP_1) | instid1(VALU_DEP_2)
	v_fma_f32 v92, 0xbfc90fda, v0, |v67|
	v_cvt_i32_f32_e32 v93, v0
	v_fmac_f32_e32 v92, 0xb3a22168, v0
	s_delay_alu instid0(VALU_DEP_1) | instskip(SKIP_1) | instid1(VALU_DEP_1)
	v_fmac_f32_e32 v92, 0xa7c234c4, v0
	v_dual_lshrrev_b32 v0, 23, v89 :: v_dual_mov_b32 v32, v11
	v_add_nc_u32_e32 v0, 0xffffff88, v0
	s_delay_alu instid0(VALU_DEP_2) | instskip(NEXT) | instid1(VALU_DEP_2)
	v_mad_nc_u64_u32 v[32:33], 0x3c439041, v14, v[32:33]
	v_cmp_lt_u32_e32 vcc_lo, 63, v0
	v_cndmask_b32_e64 v3, 0, 0xffffffc0, vcc_lo
	s_delay_alu instid0(VALU_DEP_1) | instskip(NEXT) | instid1(VALU_DEP_1)
	v_dual_add_nc_u32 v0, v3, v0 :: v_dual_mov_b32 v62, v33
	v_cmp_lt_u32_e64 s0, 31, v0
	s_delay_alu instid0(VALU_DEP_2) | instskip(NEXT) | instid1(VALU_DEP_2)
	v_mad_nc_u64_u32 v[62:63], 0xdb629599, v14, v[62:63]
	v_cndmask_b32_e64 v3, 0, 0xffffffe0, s0
	s_delay_alu instid0(VALU_DEP_2) | instskip(NEXT) | instid1(VALU_DEP_1)
	v_dual_mov_b32 v94, v63 :: v_dual_mov_b32 v63, v15
	v_mad_nc_u64_u32 v[94:95], 0xf534ddc0, v14, v[94:95]
	s_delay_alu instid0(VALU_DEP_1) | instskip(NEXT) | instid1(VALU_DEP_1)
	v_mov_b32_e32 v96, v95
	v_mad_nc_u64_u32 v[96:97], 0xfc2757d1, v14, v[96:97]
	s_delay_alu instid0(VALU_DEP_1) | instskip(NEXT) | instid1(VALU_DEP_1)
	v_dual_add_nc_u32 v0, v3, v0 :: v_dual_mov_b32 v8, v97
	v_cmp_lt_u32_e64 s1, 31, v0
	s_delay_alu instid0(VALU_DEP_2) | instskip(NEXT) | instid1(VALU_DEP_2)
	v_mad_nc_u64_u32 v[8:9], 0x4e441529, v14, v[8:9]
	v_cndmask_b32_e64 v3, 0, 0xffffffe0, s1
	s_delay_alu instid0(VALU_DEP_1) | instskip(NEXT) | instid1(VALU_DEP_3)
	v_dual_cndmask_b32 v3, v8, v94 :: v_dual_add_nc_u32 v0, v3, v0
	v_mov_b32_e32 v4, v9
	s_delay_alu instid0(VALU_DEP_2) | instskip(NEXT) | instid1(VALU_DEP_2)
	v_cmp_eq_u32_e64 s9, 0, v0
	v_mad_nc_u64_u32 v[4:5], 0xa2f9836e, v14, v[4:5]
	s_delay_alu instid0(VALU_DEP_1) | instskip(NEXT) | instid1(VALU_DEP_1)
	v_cndmask_b32_e32 v4, v4, v96, vcc_lo
	v_dual_cndmask_b32 v5, v5, v8, vcc_lo :: v_dual_cndmask_b32 v6, v4, v3, s0
	s_delay_alu instid0(VALU_DEP_1) | instskip(NEXT) | instid1(VALU_DEP_1)
	v_dual_cndmask_b32 v4, v5, v4, s0 :: v_dual_cndmask_b32 v5, v96, v62, vcc_lo
	v_dual_sub_nc_u32 v0, 32, v0 :: v_dual_cndmask_b32 v3, v3, v5, s0
	s_delay_alu instid0(VALU_DEP_1) | instskip(NEXT) | instid1(VALU_DEP_1)
	v_dual_cndmask_b32 v4, v4, v6, s1 :: v_dual_cndmask_b32 v6, v6, v3, s1
	v_alignbit_b32 v7, v4, v6, v0
	s_delay_alu instid0(VALU_DEP_1) | instskip(SKIP_1) | instid1(VALU_DEP_1)
	v_cndmask_b32_e64 v4, v7, v4, s9
	v_cndmask_b32_e32 v7, v94, v32, vcc_lo
	v_cndmask_b32_e64 v5, v5, v7, s0
	s_delay_alu instid0(VALU_DEP_1) | instskip(NEXT) | instid1(VALU_DEP_1)
	v_dual_cndmask_b32 v3, v3, v5, s1 :: v_dual_cndmask_b32 v10, v62, v10, vcc_lo
	v_alignbit_b32 v8, v6, v3, v0
	s_delay_alu instid0(VALU_DEP_2) | instskip(SKIP_1) | instid1(VALU_DEP_3)
	v_cndmask_b32_e64 v7, v7, v10, s0
	v_cmp_gt_f32_e64 s0, 0x48000000, |v22|
	v_cndmask_b32_e64 v6, v8, v6, s9
	v_bfe_u32 v11, v4, 29, 1
	s_delay_alu instid0(VALU_DEP_4) | instskip(NEXT) | instid1(VALU_DEP_3)
	v_dual_lshrrev_b32 v9, 29, v4 :: v_dual_cndmask_b32 v5, v5, v7, s1
	v_alignbit_b32 v8, v4, v6, 30
	s_delay_alu instid0(VALU_DEP_3) | instskip(NEXT) | instid1(VALU_DEP_3)
	v_sub_nc_u32_e32 v14, 0, v11
	v_alignbit_b32 v0, v3, v5, v0
	s_delay_alu instid0(VALU_DEP_2) | instskip(NEXT) | instid1(VALU_DEP_2)
	v_xor_b32_e32 v8, v8, v14
	v_cndmask_b32_e64 v0, v0, v3, s9
	v_cmp_class_f32_e64 s9, v75, 0x1f8
	s_delay_alu instid0(VALU_DEP_2) | instskip(NEXT) | instid1(VALU_DEP_4)
	v_alignbit_b32 v3, v6, v0, 30
	v_clz_i32_u32_e32 v6, v8
	v_alignbit_b32 v0, v0, v5, 30
	s_delay_alu instid0(VALU_DEP_3) | instskip(NEXT) | instid1(VALU_DEP_3)
	v_xor_b32_e32 v3, v3, v14
	v_min_u32_e32 v6, 32, v6
	s_delay_alu instid0(VALU_DEP_3) | instskip(NEXT) | instid1(VALU_DEP_2)
	v_xor_b32_e32 v0, v0, v14
	v_sub_nc_u32_e32 v7, 31, v6
	s_delay_alu instid0(VALU_DEP_1) | instskip(NEXT) | instid1(VALU_DEP_3)
	v_alignbit_b32 v8, v8, v3, v7
	v_alignbit_b32 v0, v3, v0, v7
	s_delay_alu instid0(VALU_DEP_1) | instskip(NEXT) | instid1(VALU_DEP_1)
	v_alignbit_b32 v3, v8, v0, 9
	v_clz_i32_u32_e32 v5, v3
	s_delay_alu instid0(VALU_DEP_1) | instskip(NEXT) | instid1(VALU_DEP_1)
	v_min_u32_e32 v5, 32, v5
	v_not_b32_e32 v7, v5
	v_add_lshl_u32 v5, v5, v6, 23
	v_lshlrev_b32_e32 v6, 23, v6
	s_delay_alu instid0(VALU_DEP_3) | instskip(SKIP_1) | instid1(VALU_DEP_2)
	v_alignbit_b32 v0, v3, v0, v7
	v_dual_lshlrev_b32 v3, 31, v9 :: v_dual_mov_b32 v9, v18
	v_lshrrev_b32_e32 v0, 9, v0
	s_delay_alu instid0(VALU_DEP_2) | instskip(NEXT) | instid1(VALU_DEP_1)
	v_or_b32_e32 v7, 0x33000000, v3
	v_dual_sub_nc_u32 v5, v7, v5 :: v_dual_bitop2_b32 v3, 0.5, v3 bitop3:0x54
	s_delay_alu instid0(VALU_DEP_1) | instskip(NEXT) | instid1(VALU_DEP_2)
	v_dual_mov_b32 v7, v15 :: v_dual_bitop2_b32 v0, v5, v0 bitop3:0x54
	v_dual_lshrrev_b32 v5, 9, v8 :: v_dual_sub_nc_u32 v3, v3, v6
	s_delay_alu instid0(VALU_DEP_1) | instskip(NEXT) | instid1(VALU_DEP_1)
	v_dual_mov_b32 v8, 2.0 :: v_dual_bitop2_b32 v3, v5, v3 bitop3:0x54
	v_pk_mul_f32 v[32:33], v[18:19], v[8:9] op_sel:[1,0]
	s_delay_alu instid0(VALU_DEP_2) | instskip(NEXT) | instid1(VALU_DEP_1)
	v_mul_f32_e32 v5, 0x3fc90fda, v3
	v_fma_f32 v6, 0x3fc90fda, v3, -v5
	s_delay_alu instid0(VALU_DEP_1) | instskip(NEXT) | instid1(VALU_DEP_1)
	v_fmac_f32_e32 v6, 0x33a22168, v3
	v_fmac_f32_e32 v6, 0x3fc90fda, v0
	s_delay_alu instid0(VALU_DEP_1) | instskip(NEXT) | instid1(VALU_DEP_1)
	v_dual_lshrrev_b32 v0, 30, v4 :: v_dual_add_f32 v94, v5, v6
	v_add_nc_u32_e32 v95, v11, v0
	v_mul_f32_e64 v0, 0x3f22f983, |v75|
	v_pk_add_f32 v[10:11], v[18:19], v[8:9]
	v_mov_b32_e32 v9, v15
	s_delay_alu instid0(VALU_DEP_3) | instskip(NEXT) | instid1(VALU_DEP_3)
	v_rndne_f32_e32 v0, v0
	v_dual_mov_b32 v33, v11 :: v_dual_mov_b32 v11, v15
	s_delay_alu instid0(VALU_DEP_2) | instskip(SKIP_1) | instid1(VALU_DEP_2)
	v_fma_f32 v96, 0xbfc90fda, v0, |v75|
	v_cvt_i32_f32_e32 v97, v0
	v_fmac_f32_e32 v96, 0xb3a22168, v0
	s_delay_alu instid0(VALU_DEP_1) | instskip(SKIP_1) | instid1(VALU_DEP_1)
	v_fmac_f32_e32 v96, 0xa7c234c4, v0
	v_div_scale_f32 v0, null, 0x40490fdb, 0x40490fdb, v23
	v_rcp_f32_e32 v3, v0
	v_nop
	s_delay_alu instid0(TRANS32_DEP_1) | instskip(NEXT) | instid1(VALU_DEP_1)
	v_fma_f32 v4, -v0, v3, 1.0
	v_fmac_f32_e32 v3, v4, v3
	v_div_scale_f32 v4, vcc_lo, v23, 0x40490fdb, v23
	s_delay_alu instid0(VALU_DEP_1) | instskip(NEXT) | instid1(VALU_DEP_1)
	v_mul_f32_e32 v5, v4, v3
	v_fma_f32 v6, -v0, v5, v4
	s_delay_alu instid0(VALU_DEP_1) | instskip(NEXT) | instid1(VALU_DEP_1)
	v_fmac_f32_e32 v5, v6, v3
	v_fma_f32 v0, -v0, v5, v4
	s_delay_alu instid0(VALU_DEP_1) | instskip(SKIP_1) | instid1(VALU_DEP_2)
	v_div_fmas_f32 v0, v0, v3, v5
	v_mov_b32_e32 v3, v18
	v_div_fixup_f32 v0, v0, 0x40490fdb, v23
	s_delay_alu instid0(VALU_DEP_2) | instskip(SKIP_2) | instid1(VALU_DEP_2)
	v_pk_add_f32 v[4:5], v[18:19], v[2:3] neg_lo:[0,1] neg_hi:[0,1]
	v_mov_b32_e32 v4, v18
	v_and_b32_e32 v3, 0x7fffffff, v22
	v_pk_mul_f32 v[4:5], v[4:5], v[32:33]
	s_delay_alu instid0(VALU_DEP_2) | instskip(NEXT) | instid1(VALU_DEP_2)
	v_and_or_b32 v14, v3, s31, 0x800000
	v_pk_mul_f32 v[34:35], v[4:5], v[34:35] op_sel_hi:[1,0]
	v_lshrrev_b32_e32 v4, 23, v3
	s_delay_alu instid0(VALU_DEP_1) | instskip(NEXT) | instid1(VALU_DEP_1)
	v_add_nc_u32_e32 v4, 0xffffff88, v4
	v_cmp_lt_u32_e32 vcc_lo, 63, v4
	v_cndmask_b32_e64 v5, 0, 0xffffffc0, vcc_lo
	s_delay_alu instid0(VALU_DEP_1) | instskip(NEXT) | instid1(VALU_DEP_1)
	v_add_nc_u32_e32 v4, v5, v4
	v_cmp_lt_u32_e64 s1, 31, v4
	s_delay_alu instid0(VALU_DEP_1) | instskip(NEXT) | instid1(VALU_DEP_1)
	v_cndmask_b32_e64 v5, 0, 0xffffffe0, s1
	v_add_nc_u32_e32 v4, v5, v4
	s_delay_alu instid0(VALU_DEP_1) | instskip(NEXT) | instid1(VALU_DEP_1)
	v_cmp_lt_u32_e64 s23, 31, v4
	v_cndmask_b32_e64 v5, 0, 0xffffffe0, s23
	s_delay_alu instid0(VALU_DEP_1) | instskip(SKIP_1) | instid1(VALU_DEP_1)
	v_add_nc_u32_e32 v31, v5, v4
	v_mul_u64_e32 v[4:5], s[28:29], v[14:15]
	v_mov_b32_e32 v8, v5
	s_delay_alu instid0(VALU_DEP_1) | instskip(NEXT) | instid1(VALU_DEP_1)
	v_mad_nc_u64_u32 v[8:9], 0x3c439041, v14, v[8:9]
	v_mov_b32_e32 v10, v9
	s_delay_alu instid0(VALU_DEP_1) | instskip(NEXT) | instid1(VALU_DEP_1)
	v_mad_nc_u64_u32 v[10:11], 0xdb629599, v14, v[10:11]
	v_mov_b32_e32 v62, v11
	v_cmp_eq_u32_e64 s24, 0, v31
	s_delay_alu instid0(VALU_DEP_2) | instskip(NEXT) | instid1(VALU_DEP_1)
	v_mad_nc_u64_u32 v[62:63], 0xf534ddc0, v14, v[62:63]
	v_dual_mov_b32 v6, v63 :: v_dual_cndmask_b32 v8, v62, v8, vcc_lo
	s_delay_alu instid0(VALU_DEP_1) | instskip(NEXT) | instid1(VALU_DEP_1)
	v_mad_nc_u64_u32 v[6:7], 0xfc2757d1, v14, v[6:7]
	v_dual_mov_b32 v77, v15 :: v_dual_mov_b32 v78, v7
	s_delay_alu instid0(VALU_DEP_1) | instskip(NEXT) | instid1(VALU_DEP_1)
	v_mad_nc_u64_u32 v[78:79], 0x4e441529, v14, v[78:79]
	v_dual_cndmask_b32 v5, v78, v62 :: v_dual_mov_b32 v76, v79
	s_delay_alu instid0(VALU_DEP_1) | instskip(NEXT) | instid1(VALU_DEP_1)
	v_mad_nc_u64_u32 v[76:77], 0xa2f9836e, v14, v[76:77]
	v_cndmask_b32_e32 v7, v76, v6, vcc_lo
	s_delay_alu instid0(VALU_DEP_2) | instskip(NEXT) | instid1(VALU_DEP_2)
	v_cndmask_b32_e32 v11, v77, v78, vcc_lo
	v_dual_cndmask_b32 v6, v6, v10, vcc_lo :: v_dual_cndmask_b32 v9, v7, v5, s1
	s_delay_alu instid0(VALU_DEP_1) | instskip(SKIP_1) | instid1(VALU_DEP_2)
	v_dual_cndmask_b32 v7, v11, v7, s1 :: v_dual_cndmask_b32 v5, v5, v6, s1
	v_dual_cndmask_b32 v6, v6, v8, s1 :: v_dual_sub_nc_u32 v11, 32, v31
	v_cndmask_b32_e64 v7, v7, v9, s23
	s_delay_alu instid0(VALU_DEP_3) | instskip(NEXT) | instid1(VALU_DEP_3)
	v_cndmask_b32_e64 v9, v9, v5, s23
	v_cndmask_b32_e64 v5, v5, v6, s23
	s_delay_alu instid0(VALU_DEP_2) | instskip(NEXT) | instid1(VALU_DEP_1)
	v_alignbit_b32 v14, v7, v9, v11
	v_cndmask_b32_e64 v7, v14, v7, s24
	s_delay_alu instid0(VALU_DEP_3) | instskip(NEXT) | instid1(VALU_DEP_2)
	v_alignbit_b32 v14, v9, v5, v11
	v_dual_cndmask_b32 v4, v10, v4 :: v_dual_lshrrev_b32 v31, 29, v7
	v_bfe_u32 v37, v7, 29, 1
	s_delay_alu instid0(VALU_DEP_2) | instskip(NEXT) | instid1(VALU_DEP_2)
	v_dual_cndmask_b32 v9, v14, v9, s24 :: v_dual_cndmask_b32 v4, v8, v4, s1
	v_sub_nc_u32_e32 v33, 0, v37
	v_cmp_class_f32_e64 s1, v22, 0x1f8
	s_delay_alu instid0(VALU_DEP_3) | instskip(NEXT) | instid1(VALU_DEP_4)
	v_alignbit_b32 v14, v7, v9, 30
	v_cndmask_b32_e64 v4, v6, v4, s23
	s_mov_b32 s23, 0x3c971480
	s_delay_alu instid0(VALU_DEP_2) | instskip(NEXT) | instid1(VALU_DEP_2)
	v_xor_b32_e32 v14, v14, v33
	v_alignbit_b32 v6, v5, v4, v11
	v_lshlrev_b32_e32 v11, 30, v59
	s_delay_alu instid0(VALU_DEP_3) | instskip(NEXT) | instid1(VALU_DEP_3)
	v_clz_i32_u32_e32 v8, v14
	v_cndmask_b32_e64 v5, v6, v5, s24
	s_mov_b32 s24, 0xbf000004
	s_delay_alu instid0(VALU_DEP_3) | instskip(NEXT) | instid1(VALU_DEP_3)
	v_and_b32_e32 v11, 0x80000000, v11
	v_min_u32_e32 v8, 32, v8
	s_delay_alu instid0(VALU_DEP_3) | instskip(SKIP_1) | instid1(VALU_DEP_2)
	v_alignbit_b32 v6, v9, v5, 30
	v_alignbit_b32 v4, v5, v4, 30
	v_dual_sub_nc_u32 v9, 31, v8 :: v_dual_bitop2_b32 v6, v6, v33 bitop3:0x14
	s_delay_alu instid0(VALU_DEP_2) | instskip(NEXT) | instid1(VALU_DEP_2)
	v_xor_b32_e32 v4, v4, v33
	v_alignbit_b32 v10, v14, v6, v9
	s_delay_alu instid0(VALU_DEP_2) | instskip(NEXT) | instid1(VALU_DEP_1)
	v_alignbit_b32 v4, v6, v4, v9
	v_alignbit_b32 v5, v10, v4, 9
	s_delay_alu instid0(VALU_DEP_1) | instskip(NEXT) | instid1(VALU_DEP_1)
	v_clz_i32_u32_e32 v6, v5
	v_min_u32_e32 v6, 32, v6
	s_delay_alu instid0(VALU_DEP_1) | instskip(SKIP_2) | instid1(VALU_DEP_3)
	v_not_b32_e32 v9, v6
	v_add_lshl_u32 v6, v6, v8, 23
	v_lshlrev_b32_e32 v8, 23, v8
	v_alignbit_b32 v4, v5, v4, v9
	s_delay_alu instid0(VALU_DEP_1) | instskip(NEXT) | instid1(VALU_DEP_1)
	v_dual_lshlrev_b32 v5, 31, v31 :: v_dual_lshrrev_b32 v4, 9, v4
	v_or_b32_e32 v9, 0x33000000, v5
	s_delay_alu instid0(VALU_DEP_1) | instskip(NEXT) | instid1(VALU_DEP_1)
	v_dual_sub_nc_u32 v6, v9, v6 :: v_dual_bitop2_b32 v5, 0.5, v5 bitop3:0x54
	v_dual_sub_nc_u32 v5, v5, v8 :: v_dual_bitop2_b32 v9, 1, v59 bitop3:0x40
	s_delay_alu instid0(VALU_DEP_2) | instskip(NEXT) | instid1(VALU_DEP_1)
	v_dual_lshrrev_b32 v6, 9, v10 :: v_dual_bitop2_b32 v4, v6, v4 bitop3:0x54
	v_dual_lshlrev_b32 v10, 30, v83 :: v_dual_bitop2_b32 v5, v6, v5 bitop3:0x54
	s_delay_alu instid0(VALU_DEP_1) | instskip(NEXT) | instid1(VALU_DEP_2)
	v_and_b32_e32 v10, 0x80000000, v10
	v_mul_f32_e32 v6, 0x3fc90fda, v5
	s_delay_alu instid0(VALU_DEP_1) | instskip(NEXT) | instid1(VALU_DEP_1)
	v_fma_f32 v8, 0x3fc90fda, v5, -v6
	v_fmac_f32_e32 v8, 0x33a22168, v5
	s_delay_alu instid0(VALU_DEP_1) | instskip(NEXT) | instid1(VALU_DEP_1)
	v_fmac_f32_e32 v8, 0x3fc90fda, v4
	v_dual_add_f32 v33, v6, v8 :: v_dual_lshrrev_b32 v4, 30, v7
	s_delay_alu instid0(VALU_DEP_1) | instskip(SKIP_1) | instid1(VALU_DEP_1)
	v_add_nc_u32_e32 v60, v37, v4
	v_mul_f32_e64 v4, 0x3f22f983, |v22|
	v_rndne_f32_e32 v4, v4
	s_delay_alu instid0(VALU_DEP_1) | instskip(SKIP_1) | instid1(VALU_DEP_2)
	v_fma_f32 v62, 0xbfc90fda, v4, |v22|
	v_cvt_i32_f32_e32 v63, v4
	v_fmac_f32_e32 v62, 0xb3a22168, v4
	s_delay_alu instid0(VALU_DEP_1) | instskip(SKIP_1) | instid1(VALU_DEP_1)
	v_fmac_f32_e32 v62, 0xa7c234c4, v4
	v_div_scale_f32 v4, null, v22, v22, v18
	v_rcp_f32_e32 v5, v4
	v_nop
	s_delay_alu instid0(TRANS32_DEP_1) | instskip(NEXT) | instid1(VALU_DEP_1)
	v_fma_f32 v6, -v4, v5, 1.0
	v_fmac_f32_e32 v5, v6, v5
	v_div_scale_f32 v6, vcc_lo, v18, v22, v18
	s_delay_alu instid0(VALU_DEP_1) | instskip(NEXT) | instid1(VALU_DEP_1)
	v_mul_f32_e32 v7, v6, v5
	v_fma_f32 v8, -v4, v7, v6
	s_delay_alu instid0(VALU_DEP_1) | instskip(NEXT) | instid1(VALU_DEP_1)
	v_fmac_f32_e32 v7, v8, v5
	v_fma_f32 v4, -v4, v7, v6
	s_delay_alu instid0(VALU_DEP_1) | instskip(NEXT) | instid1(VALU_DEP_1)
	v_div_fmas_f32 v4, v4, v5, v7
	v_div_fixup_f32 v81, v4, v22, v18
	v_div_scale_f32 v4, null, v22, v22, v19
	s_delay_alu instid0(VALU_DEP_1) | instskip(SKIP_1) | instid1(TRANS32_DEP_1)
	v_rcp_f32_e32 v5, v4
	v_nop
	v_fma_f32 v6, -v4, v5, 1.0
	s_delay_alu instid0(VALU_DEP_1) | instskip(SKIP_1) | instid1(VALU_DEP_1)
	v_fmac_f32_e32 v5, v6, v5
	v_div_scale_f32 v6, vcc_lo, v19, v22, v19
	v_mul_f32_e32 v7, v6, v5
	s_delay_alu instid0(VALU_DEP_1) | instskip(NEXT) | instid1(VALU_DEP_1)
	v_fma_f32 v8, -v4, v7, v6
	v_fmac_f32_e32 v7, v8, v5
	s_delay_alu instid0(VALU_DEP_1) | instskip(NEXT) | instid1(VALU_DEP_1)
	v_fma_f32 v4, -v4, v7, v6
	v_div_fmas_f32 v4, v4, v5, v7
	v_cndmask_b32_e64 v5, v84, v85, s15
	v_cmp_eq_u32_e32 vcc_lo, 0, v9
	s_delay_alu instid0(VALU_DEP_3) | instskip(NEXT) | instid1(VALU_DEP_3)
	v_div_fixup_f32 v4, v4, v22, v19
	v_mul_f32_e32 v6, v5, v5
	s_delay_alu instid0(VALU_DEP_1) | instskip(SKIP_1) | instid1(VALU_DEP_2)
	v_fmaak_f32 v7, s30, v6, 0x3c0881c4
	v_fmaak_f32 v8, s34, v6, 0xbab64f3b
	;; [unrolled: 1-line block ×3, first 2 shown]
	s_delay_alu instid0(VALU_DEP_1) | instskip(NEXT) | instid1(VALU_DEP_1)
	v_dual_fmaak_f32 v8, v6, v8, 0x3d2aabf7 :: v_dual_mul_f32 v7, v6, v7
	v_fmaak_f32 v8, v6, v8, 0xbf000004
	s_delay_alu instid0(VALU_DEP_2) | instskip(NEXT) | instid1(VALU_DEP_2)
	v_fma_f32 v7, v5, v7, v5
	v_fma_f32 v8, v6, v8, 1.0
	s_delay_alu instid0(VALU_DEP_1) | instskip(NEXT) | instid1(VALU_DEP_1)
	v_cndmask_b32_e64 v9, -v7, v8, vcc_lo
	v_dual_cndmask_b32 v7, v8, v7, vcc_lo :: v_dual_bitop2_b32 v9, v11, v9 bitop3:0x14
	v_or_b32_e32 v8, v10, v43
	v_alignbit_b32 v43, v111, v114, 30
	s_delay_alu instid0(VALU_DEP_3) | instskip(NEXT) | instid1(VALU_DEP_3)
	v_cndmask_b32_e64 v9, 0x7fc00000, v9, s16
	v_xor_b32_e32 v8, v8, v19
	s_delay_alu instid0(VALU_DEP_1) | instskip(NEXT) | instid1(VALU_DEP_1)
	v_xor_b32_e32 v8, v8, v58
	v_cndmask_b32_e64 v84, 0x7fc00000, v8, s17
	s_delay_alu instid0(VALU_DEP_1) | instskip(SKIP_1) | instid1(VALU_DEP_1)
	v_div_scale_f32 v8, null, v9, v9, v84
	v_or_b32_e32 v11, v11, v36
	v_xor_b32_e32 v7, v11, v7
	s_delay_alu instid0(VALU_DEP_3) | instskip(SKIP_1) | instid1(TRANS32_DEP_1)
	v_rcp_f32_e32 v11, v8
	v_nop
	v_fma_f32 v14, -v8, v11, 1.0
	s_delay_alu instid0(VALU_DEP_1) | instskip(SKIP_1) | instid1(VALU_DEP_1)
	v_fmac_f32_e32 v11, v14, v11
	v_div_scale_f32 v14, vcc_lo, v84, v9, v84
	v_mul_f32_e32 v31, v14, v11
	s_delay_alu instid0(VALU_DEP_1) | instskip(NEXT) | instid1(VALU_DEP_1)
	v_fma_f32 v37, -v8, v31, v14
	v_fmac_f32_e32 v31, v37, v11
	s_delay_alu instid0(VALU_DEP_1) | instskip(SKIP_1) | instid1(VALU_DEP_2)
	v_fma_f32 v8, -v8, v31, v14
	v_bfe_u32 v14, v25, 29, 1
	v_div_fmas_f32 v8, v8, v11, v31
	v_fmaak_f32 v11, s23, v6, 0xbf039337
	s_delay_alu instid0(VALU_DEP_2) | instskip(NEXT) | instid1(VALU_DEP_2)
	v_div_fixup_f32 v85, v8, v9, v84
	v_fmaak_f32 v11, v6, v11, 0x3f93f425
	v_cndmask_b32_e64 v8, v86, v50, s15
	v_fmaak_f32 v9, s36, v6, 0x3ec54587
	v_cmp_gt_f32_e64 s15, 0x48000000, |v102|
	s_delay_alu instid0(VALU_DEP_4) | instskip(NEXT) | instid1(VALU_DEP_3)
	v_rcp_f32_e32 v11, v11
	v_and_b32_e32 v8, 1, v8
	s_delay_alu instid0(VALU_DEP_1) | instskip(SKIP_2) | instid1(TRANS32_DEP_1)
	v_cmp_eq_u32_e32 vcc_lo, 0, v8
	v_alignbit_b32 v8, v25, v24, 30
	v_alignbit_b32 v24, v24, v80, 30
	v_mul_f32_e32 v9, v9, v11
	s_delay_alu instid0(VALU_DEP_1) | instskip(NEXT) | instid1(VALU_DEP_1)
	v_mul_f32_e32 v6, v6, v9
	v_fma_f32 v9, v6, v5, v5
	s_delay_alu instid0(VALU_DEP_1) | instskip(NEXT) | instid1(VALU_DEP_1)
	v_sub_f32_e32 v11, v9, v5
	v_fma_f32 v5, v6, v5, -v11
	v_rcp_f32_e32 v6, v9
	v_nop
	s_delay_alu instid0(TRANS32_DEP_1) | instskip(NEXT) | instid1(VALU_DEP_1)
	v_fma_f32 v11, v9, -v6, 1.0
	v_dual_fma_f32 v5, v5, -v6, v11 :: v_dual_bitop2_b32 v10, v10, v51 bitop3:0x14
	s_delay_alu instid0(VALU_DEP_1) | instskip(SKIP_1) | instid1(VALU_DEP_3)
	v_cndmask_b32_e64 v37, 0x7fc00000, v10, s17
	v_sub_nc_u32_e32 v10, 0, v14
	v_fma_f32 v5, v5, -v6, -v6
	v_xor_b32_e32 v7, v7, v18
	s_delay_alu instid0(VALU_DEP_3) | instskip(NEXT) | instid1(VALU_DEP_3)
	v_dual_lshrrev_b32 v6, 29, v113 :: v_dual_bitop2_b32 v8, v8, v10 bitop3:0x14
	v_cndmask_b32_e32 v5, v5, v9, vcc_lo
	s_delay_alu instid0(VALU_DEP_3)
	v_cndmask_b32_e64 v83, 0x7fc00000, v7, s16
	v_alignbit_b32 v9, v113, v111, 30
	v_cmp_gt_f32_e64 vcc_lo, 0x48000000, |v20|
	v_lshlrev_b32_e32 v6, 31, v6
	v_xor3_b32 v5, v18, v5, v36
	v_cndmask_b32_e64 v36, 0x7fc00000, v7, s16
	v_bfe_u32 v7, v113, 29, 1
	v_xor_b32_e32 v24, v24, v10
	s_delay_alu instid0(VALU_DEP_4) | instskip(NEXT) | instid1(VALU_DEP_3)
	v_cndmask_b32_e64 v86, 0x7fc00000, v5, s16
	v_dual_lshrrev_b32 v5, 29, v25 :: v_dual_sub_nc_u32 v11, 0, v7
	s_delay_alu instid0(VALU_DEP_1) | instskip(SKIP_3) | instid1(VALU_DEP_4)
	v_dual_lshlrev_b32 v5, 31, v5 :: v_dual_bitop2_b32 v9, v9, v11 bitop3:0x14
	v_xor_b32_e32 v31, v115, v11
	v_xor_b32_e32 v11, v43, v11
	v_clz_i32_u32_e32 v43, v8
	v_clz_i32_u32_e32 v25, v9
	s_delay_alu instid0(VALU_DEP_2) | instskip(NEXT) | instid1(VALU_DEP_2)
	v_min_u32_e32 v43, 32, v43
	v_min_u32_e32 v25, 32, v25
	s_delay_alu instid0(VALU_DEP_1) | instskip(NEXT) | instid1(VALU_DEP_1)
	v_dual_sub_nc_u32 v50, 31, v43 :: v_dual_sub_nc_u32 v51, 31, v25
	v_alignbit_b32 v59, v8, v24, v50
	v_xor_b32_e32 v8, v127, v10
	s_delay_alu instid0(VALU_DEP_1) | instskip(NEXT) | instid1(VALU_DEP_1)
	v_alignbit_b32 v8, v24, v8, v50
	v_alignbit_b32 v10, v59, v8, 9
	s_delay_alu instid0(VALU_DEP_1) | instskip(NEXT) | instid1(VALU_DEP_1)
	v_clz_i32_u32_e32 v50, v10
	v_min_u32_e32 v50, 32, v50
	s_delay_alu instid0(VALU_DEP_1) | instskip(SKIP_1) | instid1(VALU_DEP_2)
	v_xor_b32_e32 v77, -1, v50
	v_add_lshl_u32 v50, v50, v43, 23
	v_alignbit_b32 v8, v10, v8, v77
	v_or_b32_e32 v10, 0x33000000, v6
	s_delay_alu instid0(VALU_DEP_2) | instskip(SKIP_4) | instid1(VALU_DEP_3)
	v_dual_lshrrev_b32 v8, 9, v8 :: v_dual_bitop2_b32 v6, 0.5, v6 bitop3:0x54
	v_alignbit_b32 v58, v9, v11, v51
	v_alignbit_b32 v9, v11, v31, v51
	v_add_nc_u32_e32 v31, v7, v109
	v_mul_f32_e64 v7, 0x3f22f983, |v102|
	v_alignbit_b32 v11, v58, v9, 9
	s_delay_alu instid0(VALU_DEP_2) | instskip(NEXT) | instid1(VALU_DEP_2)
	v_rndne_f32_e32 v7, v7
	v_clz_i32_u32_e32 v24, v11
	s_delay_alu instid0(VALU_DEP_2) | instskip(NEXT) | instid1(VALU_DEP_2)
	v_cvt_i32_f32_e32 v76, v7
	v_min_u32_e32 v24, 32, v24
	s_delay_alu instid0(VALU_DEP_1) | instskip(SKIP_1) | instid1(VALU_DEP_2)
	v_xor_b32_e32 v51, -1, v24
	v_add_lshl_u32 v24, v25, v24, 23
	v_alignbit_b32 v9, v11, v9, v51
	v_or_b32_e32 v11, 0x33000000, v5
	s_delay_alu instid0(VALU_DEP_3) | instskip(SKIP_1) | instid1(VALU_DEP_3)
	v_dual_sub_nc_u32 v10, v10, v24 :: v_dual_lshrrev_b32 v24, 9, v59
	v_or_b32_e32 v5, 0.5, v5
	v_dual_lshrrev_b32 v9, 9, v9 :: v_dual_sub_nc_u32 v11, v11, v50
	s_delay_alu instid0(VALU_DEP_1) | instskip(NEXT) | instid1(VALU_DEP_2)
	v_or_b32_e32 v9, v10, v9
	v_dual_lshrrev_b32 v10, 9, v58 :: v_dual_bitop2_b32 v8, v11, v8 bitop3:0x54
	v_dual_lshlrev_b32 v11, 23, v43 :: v_dual_lshlrev_b32 v25, 23, v25
	s_delay_alu instid0(VALU_DEP_1) | instskip(NEXT) | instid1(VALU_DEP_1)
	v_dual_sub_nc_u32 v5, v5, v11 :: v_dual_sub_nc_u32 v6, v6, v25
	v_or_b32_e32 v11, v10, v6
	v_mul_f32_e64 v6, 0x3f22f983, |v20|
	s_delay_alu instid0(VALU_DEP_3) | instskip(NEXT) | instid1(VALU_DEP_2)
	v_dual_add_nc_u32 v5, v14, v126 :: v_dual_bitop2_b32 v10, v24, v5 bitop3:0x54
	v_rndne_f32_e32 v6, v6
	s_delay_alu instid0(VALU_DEP_1) | instskip(NEXT) | instid1(VALU_DEP_1)
	v_cvt_i32_f32_e32 v14, v6
	v_dual_cndmask_b32 v5, v5, v14, vcc_lo :: v_dual_cndmask_b32 v14, v31, v76, s15
	s_delay_alu instid0(VALU_DEP_4) | instskip(NEXT) | instid1(VALU_DEP_1)
	v_pk_mul_f32 v[24:25], v[10:11], s[44:45] op_sel_hi:[1,0]
	v_pk_fma_f32 v[50:51], v[10:11], s[44:45], v[24:25] op_sel_hi:[1,0,1] neg_lo:[0,0,1] neg_hi:[0,0,1]
	s_delay_alu instid0(VALU_DEP_1) | instskip(NEXT) | instid1(VALU_DEP_1)
	v_pk_fma_f32 v[10:11], v[10:11], s[46:47], v[50:51] op_sel_hi:[1,0,1]
	v_pk_fma_f32 v[8:9], v[8:9], s[44:45], v[10:11] op_sel_hi:[1,0,1]
	v_pk_fma_f32 v[10:11], v[6:7], s[42:43], v[40:41] op_sel_hi:[1,0,1]
	s_delay_alu instid0(VALU_DEP_2) | instskip(NEXT) | instid1(VALU_DEP_2)
	v_pk_add_f32 v[8:9], v[24:25], v[8:9]
	v_pk_fma_f32 v[10:11], v[6:7], s[40:41], v[10:11] op_sel_hi:[1,0,1]
	v_and_b32_e32 v24, 1, v14
	v_dual_lshlrev_b32 v5, 30, v5 :: v_dual_bitop2_b32 v25, 1, v5 bitop3:0x40
	v_lshlrev_b32_e32 v14, 30, v14
	s_delay_alu instid0(VALU_DEP_4) | instskip(NEXT) | instid1(VALU_DEP_3)
	v_pk_fma_f32 v[10:11], v[6:7], s[38:39], v[10:11] op_sel_hi:[1,0,1]
	v_and_b32_e32 v5, 0x80000000, v5
	s_delay_alu instid0(VALU_DEP_3) | instskip(NEXT) | instid1(VALU_DEP_3)
	v_and_b32_e32 v14, 0x80000000, v14
	v_dual_cndmask_b32 v7, v9, v11, s15 :: v_dual_cndmask_b32 v6, v8, v10, vcc_lo
	v_cmp_eq_u32_e32 vcc_lo, 0, v25
	v_cmp_eq_u32_e64 s15, 0, v24
	s_delay_alu instid0(VALU_DEP_3) | instskip(NEXT) | instid1(VALU_DEP_1)
	v_pk_mul_f32 v[8:9], v[6:7], v[6:7]
	v_pk_fma_f32 v[10:11], v[8:9], s[34:35], s[50:51] op_sel_hi:[1,0,0]
	v_pk_fma_f32 v[24:25], v[8:9], s[30:31], s[54:55] op_sel_hi:[1,0,0]
	s_delay_alu instid0(VALU_DEP_2) | instskip(NEXT) | instid1(VALU_DEP_2)
	v_pk_fma_f32 v[10:11], v[8:9], v[10:11], s[48:49] op_sel_hi:[1,1,0]
	v_pk_fma_f32 v[24:25], v[8:9], v[24:25], s[52:53] op_sel_hi:[1,1,0]
	s_delay_alu instid0(VALU_DEP_2) | instskip(NEXT) | instid1(VALU_DEP_1)
	v_pk_fma_f32 v[10:11], v[8:9], v[10:11], s[24:25] op_sel_hi:[1,1,0]
	v_pk_fma_f32 v[10:11], v[8:9], v[10:11], 1.0 op_sel_hi:[1,1,0]
	s_delay_alu instid0(VALU_DEP_3) | instskip(NEXT) | instid1(VALU_DEP_1)
	v_pk_mul_f32 v[8:9], v[8:9], v[24:25]
	v_pk_fma_f32 v[6:7], v[6:7], v[8:9], v[6:7]
	s_delay_alu instid0(VALU_DEP_1) | instskip(SKIP_1) | instid1(VALU_DEP_2)
	v_dual_cndmask_b32 v8, -v7, v11, s15 :: v_dual_cndmask_b32 v9, -v6, v10, vcc_lo
	v_dual_cndmask_b32 v6, v10, v6, vcc_lo :: v_dual_cndmask_b32 v10, v11, v7, s15
	v_xor_b32_e32 v8, v14, v8
	s_delay_alu instid0(VALU_DEP_3) | instskip(NEXT) | instid1(VALU_DEP_3)
	v_xor_b32_e32 v31, v5, v9
	v_xor_b32_e32 v6, v6, v20
	s_delay_alu instid0(VALU_DEP_3) | instskip(NEXT) | instid1(VALU_DEP_2)
	v_cndmask_b32_e64 v58, 0x7fc00000, v8, s22
	v_xor_b32_e32 v6, v6, v40
	s_delay_alu instid0(VALU_DEP_1) | instskip(SKIP_3) | instid1(VALU_DEP_2)
	v_dual_cndmask_b32 v5, v117, v118, s18 :: v_dual_bitop2_b32 v102, v6, v5 bitop3:0x14
	v_xor_b32_e32 v7, v10, v23
	v_cndmask_b32_e64 v6, v116, v119, s18
	s_mov_b32 s18, 0x3e76c4e1
	v_xor_b32_e32 v7, v7, v41
	s_delay_alu instid0(VALU_DEP_1) | instskip(NEXT) | instid1(VALU_DEP_1)
	v_xor_b32_e32 v7, v14, v7
	v_cndmask_b32_e64 v59, 0x7fc00000, v7, s22
	v_mul_f32_e32 v7, v5, v5
	s_delay_alu instid0(VALU_DEP_1) | instskip(NEXT) | instid1(VALU_DEP_1)
	v_fmaak_f32 v8, s30, v7, 0x3c0881c4
	v_fmaak_f32 v8, v7, v8, 0xbe2aaa9d
	s_delay_alu instid0(VALU_DEP_1) | instskip(NEXT) | instid1(VALU_DEP_1)
	v_mul_f32_e32 v8, v7, v8
	v_dual_fmac_f32 v5, v5, v8 :: v_dual_fmaak_f32 v8, s34, v7, 0xbab64f3b
	s_delay_alu instid0(VALU_DEP_1) | instskip(NEXT) | instid1(VALU_DEP_1)
	v_fmaak_f32 v8, v7, v8, 0x3d2aabf7
	v_fmaak_f32 v8, v7, v8, 0xbf000004
	s_delay_alu instid0(VALU_DEP_1) | instskip(SKIP_1) | instid1(VALU_DEP_1)
	v_fma_f32 v7, v7, v8, 1.0
	v_dual_lshlrev_b32 v6, 30, v6 :: v_dual_bitop2_b32 v8, 1, v6 bitop3:0x40
	v_cmp_eq_u32_e32 vcc_lo, 0, v8
	s_delay_alu instid0(VALU_DEP_2) | instskip(NEXT) | instid1(VALU_DEP_4)
	v_and_b32_e32 v9, 0x80000000, v6
	v_dual_cndmask_b32 v8, -v5, v7, vcc_lo :: v_dual_cndmask_b32 v5, v7, v5, vcc_lo
	v_cmp_neq_f32_e32 vcc_lo, 1.0, v20
	s_delay_alu instid0(VALU_DEP_2) | instskip(NEXT) | instid1(VALU_DEP_3)
	v_bitop3_b32 v6, v6, v8, 0x80000000 bitop3:0x6c
	v_xor_b32_e32 v5, v110, v5
	s_delay_alu instid0(VALU_DEP_2) | instskip(NEXT) | instid1(VALU_DEP_2)
	v_cndmask_b32_e64 v7, 0x7fc00000, v6, s19
	v_xor3_b32 v5, v5, v112, v9
	s_delay_alu instid0(VALU_DEP_1) | instskip(SKIP_2) | instid1(VALU_DEP_2)
	v_cndmask_b32_e64 v6, 0xffc00000, -v5, s19
	v_or_b32_e32 v5, v14, v41
	s_mov_b32 s19, 0x3f2aaaaa
	v_pk_mul_f32 v[38:39], v[6:7], v[38:39]
	s_delay_alu instid0(VALU_DEP_2) | instskip(NEXT) | instid1(VALU_DEP_1)
	v_xor3_b32 v5, v5, v23, v10
	v_cndmask_b32_e64 v40, 0x7fc00000, v5, s22
	s_delay_alu instid0(VALU_DEP_1) | instskip(NEXT) | instid1(VALU_DEP_1)
	v_cndmask_b32_e32 v41, 1.0, v40, vcc_lo
	v_cmp_neq_f32_e32 vcc_lo, 0, v41
	v_cmp_neq_f32_e64 s16, v41, |v41|
	v_cndmask_b32_e32 v43, 1.0, v20, vcc_lo
	s_delay_alu instid0(VALU_DEP_1) | instskip(SKIP_1) | instid1(VALU_DEP_2)
	v_frexp_mant_f32_e64 v5, |v43|
	v_cmp_lt_f32_e64 s17, |v43|, 1.0
	v_cmp_gt_f32_e32 vcc_lo, 0x3f2aaaab, v5
	s_xor_b32 s16, s16, s17
	v_cmp_gt_f32_e64 s17, 0, v41
	v_cndmask_b32_e64 v6, 1.0, 2.0, vcc_lo
	s_delay_alu instid0(VALU_DEP_1) | instskip(NEXT) | instid1(VALU_DEP_1)
	v_mul_f32_e32 v5, v5, v6
	v_add_f32_e32 v6, 1.0, v5
	s_delay_alu instid0(VALU_DEP_1) | instskip(SKIP_1) | instid1(VALU_DEP_1)
	v_add_f32_e32 v7, -1.0, v6
	v_rcp_f32_e32 v14, v6
	v_dual_sub_f32 v9, v5, v7 :: v_dual_add_f32 v7, -1.0, v5
	s_delay_alu instid0(TRANS32_DEP_1) | instid1(VALU_DEP_1)
	v_mul_f32_e32 v5, v7, v14
	s_delay_alu instid0(VALU_DEP_1) | instskip(NEXT) | instid1(VALU_DEP_1)
	v_mul_f32_e32 v8, v6, v5
	v_fma_f32 v10, v5, v6, -v8
	s_delay_alu instid0(VALU_DEP_1) | instskip(NEXT) | instid1(VALU_DEP_1)
	v_fmac_f32_e32 v10, v5, v9
	v_add_f32_e32 v6, v8, v10
	s_delay_alu instid0(VALU_DEP_1) | instskip(NEXT) | instid1(VALU_DEP_1)
	v_dual_sub_f32 v9, v7, v6 :: v_dual_mov_b32 v11, v6
	v_pk_add_f32 v[24:25], v[6:7], v[8:9] neg_lo:[0,1] neg_hi:[0,1]
	s_delay_alu instid0(VALU_DEP_1) | instskip(NEXT) | instid1(VALU_DEP_1)
	v_pk_add_f32 v[6:7], v[24:25], v[10:11] neg_lo:[0,1] neg_hi:[0,1]
	v_add_f32_e32 v6, v6, v7
	s_delay_alu instid0(VALU_DEP_1) | instskip(NEXT) | instid1(VALU_DEP_1)
	v_add_f32_e32 v6, v9, v6
	v_mul_f32_e32 v7, v14, v6
	s_delay_alu instid0(VALU_DEP_1) | instskip(NEXT) | instid1(VALU_DEP_1)
	v_add_f32_e32 v6, v5, v7
	v_sub_f32_e32 v5, v6, v5
	s_delay_alu instid0(VALU_DEP_1) | instskip(NEXT) | instid1(VALU_DEP_1)
	v_dual_sub_f32 v5, v7, v5 :: v_dual_mul_f32 v7, v6, v6
	v_dual_add_f32 v8, v5, v5 :: v_dual_fma_f32 v9, v6, v6, -v7
	s_delay_alu instid0(VALU_DEP_1) | instskip(NEXT) | instid1(VALU_DEP_1)
	v_fmac_f32_e32 v9, v6, v8
	v_add_f32_e32 v8, v7, v9
	s_delay_alu instid0(VALU_DEP_1) | instskip(NEXT) | instid1(VALU_DEP_1)
	v_dual_fmaak_f32 v10, s18, v8, 0x3e91f4c4 :: v_dual_sub_f32 v7, v8, v7
	v_fmaak_f32 v10, v8, v10, 0x3ecccdef
	s_delay_alu instid0(VALU_DEP_1) | instskip(NEXT) | instid1(VALU_DEP_1)
	v_dual_sub_f32 v14, v9, v7 :: v_dual_mul_f32 v7, v8, v10
	v_fma_f32 v9, v8, v10, -v7
	s_delay_alu instid0(VALU_DEP_1) | instskip(NEXT) | instid1(VALU_DEP_1)
	v_fmac_f32_e32 v9, v14, v10
	v_add_f32_e32 v10, v7, v9
	s_delay_alu instid0(VALU_DEP_1) | instskip(NEXT) | instid1(VALU_DEP_1)
	v_sub_f32_e32 v7, v10, v7
	v_sub_f32_e32 v7, v9, v7
	s_delay_alu instid0(VALU_DEP_1) | instskip(SKIP_1) | instid1(VALU_DEP_1)
	v_add_f32_e32 v7, 0x31739010, v7
	v_add_f32_e32 v11, 0x3f2aaaaa, v10
	;; [unrolled: 1-line block ×3, first 2 shown]
	s_delay_alu instid0(VALU_DEP_1) | instskip(NEXT) | instid1(VALU_DEP_1)
	v_sub_f32_e32 v9, v10, v9
	v_pk_mul_f32 v[24:25], v[6:7], v[8:9]
	s_delay_alu instid0(VALU_DEP_1) | instskip(SKIP_1) | instid1(VALU_DEP_1)
	v_fma_f32 v10, v8, v6, -v24
	v_pk_add_f32 v[50:51], v[6:7], v[8:9]
	v_dual_fmac_f32 v10, v8, v5 :: v_dual_mov_b32 v25, v51
	v_ldexp_f32 v5, v5, 1
	s_delay_alu instid0(VALU_DEP_2) | instskip(NEXT) | instid1(VALU_DEP_1)
	v_fmac_f32_e32 v10, v14, v6
	v_pk_add_f32 v[8:9], v[24:25], v[10:11]
	s_delay_alu instid0(VALU_DEP_1) | instskip(NEXT) | instid1(VALU_DEP_1)
	v_sub_f32_e32 v7, v8, v24
	v_dual_sub_f32 v7, v10, v7 :: v_dual_sub_f32 v10, v11, v9
	s_delay_alu instid0(VALU_DEP_1) | instskip(SKIP_1) | instid1(VALU_DEP_2)
	v_dual_add_f32 v14, v51, v10 :: v_dual_mov_b32 v10, v9
	v_ldexp_f32 v51, v6, 1
	v_pk_mul_f32 v[10:11], v[8:9], v[10:11]
	s_delay_alu instid0(VALU_DEP_1) | instskip(NEXT) | instid1(VALU_DEP_1)
	v_dual_mov_b32 v11, v51 :: v_dual_fma_f32 v24, v8, v9, -v10
	v_fmac_f32_e32 v24, v8, v14
	s_delay_alu instid0(VALU_DEP_1) | instskip(SKIP_1) | instid1(VALU_DEP_1)
	v_fmac_f32_e32 v24, v7, v9
	v_cvt_f64_f32_e64 v[8:9], |v43|
	v_frexp_exp_i32_f64_e32 v7, v[8:9]
	s_delay_alu instid0(VALU_DEP_3) | instskip(NEXT) | instid1(VALU_DEP_1)
	v_add_f32_e32 v9, v10, v24
	v_dual_mov_b32 v76, v9 :: v_dual_mov_b32 v25, v9
	s_delay_alu instid0(VALU_DEP_3) | instskip(NEXT) | instid1(VALU_DEP_1)
	v_subrev_co_ci_u32_e64 v7, null, 0, v7, vcc_lo
	v_cvt_f32_i32_e32 v7, v7
	s_delay_alu instid0(VALU_DEP_1) | instskip(NEXT) | instid1(VALU_DEP_1)
	v_mul_f32_e32 v8, 0x3f317218, v7
	v_fma_f32 v50, 0x3f317218, v7, -v8
	s_delay_alu instid0(VALU_DEP_1) | instskip(NEXT) | instid1(VALU_DEP_1)
	v_fmac_f32_e32 v50, 0xb102e308, v7
	v_pk_add_f32 v[6:7], v[8:9], v[50:51]
	s_delay_alu instid0(VALU_DEP_1) | instskip(NEXT) | instid1(VALU_DEP_1)
	v_dual_mov_b32 v77, v7 :: v_dual_mov_b32 v51, v6
	v_pk_add_f32 v[10:11], v[76:77], v[10:11] neg_lo:[0,1] neg_hi:[0,1]
	s_delay_alu instid0(VALU_DEP_1) | instskip(NEXT) | instid1(VALU_DEP_1)
	v_pk_add_f32 v[10:11], v[24:25], v[10:11] neg_lo:[0,1] neg_hi:[0,1]
	v_add_f32_e32 v5, v5, v10
	s_delay_alu instid0(VALU_DEP_1) | instskip(NEXT) | instid1(VALU_DEP_1)
	v_add_f32_e32 v9, v5, v11
	v_pk_add_f32 v[24:25], v[6:7], v[8:9]
	v_pk_add_f32 v[10:11], v[6:7], v[8:9] neg_lo:[0,1] neg_hi:[0,1]
	s_delay_alu instid0(VALU_DEP_2) | instskip(NEXT) | instid1(VALU_DEP_1)
	v_mov_b32_e32 v11, v25
	v_pk_add_f32 v[76:77], v[50:51], v[10:11] neg_lo:[0,1] neg_hi:[0,1]
	v_pk_add_f32 v[10:11], v[50:51], v[10:11]
	s_delay_alu instid0(VALU_DEP_1) | instskip(SKIP_1) | instid1(VALU_DEP_2)
	v_dual_mov_b32 v10, v25 :: v_dual_mov_b32 v8, v11
	v_mov_b32_e32 v77, v11
	v_pk_add_f32 v[50:51], v[8:9], v[6:7] neg_lo:[0,1] neg_hi:[0,1]
	s_delay_alu instid0(VALU_DEP_1) | instskip(NEXT) | instid1(VALU_DEP_1)
	v_mov_b32_e32 v5, v50
	v_pk_add_f32 v[78:79], v[24:25], v[4:5] neg_lo:[0,1] neg_hi:[0,1]
	v_dual_mov_b32 v24, v7 :: v_dual_mov_b32 v25, v50
	v_mov_b32_e32 v78, v76
	s_delay_alu instid0(VALU_DEP_2) | instskip(SKIP_1) | instid1(VALU_DEP_1)
	v_pk_add_f32 v[10:11], v[10:11], v[24:25] neg_lo:[0,1] neg_hi:[0,1]
	v_dual_mov_b32 v24, v9 :: v_dual_mov_b32 v25, v6
	v_pk_add_f32 v[6:7], v[24:25], v[10:11] neg_lo:[0,1] neg_hi:[0,1]
	s_delay_alu instid0(VALU_DEP_1) | instskip(NEXT) | instid1(VALU_DEP_1)
	v_pk_add_f32 v[10:11], v[78:79], v[6:7]
	v_mov_b32_e32 v14, v11
	s_delay_alu instid0(VALU_DEP_1) | instskip(SKIP_1) | instid1(VALU_DEP_2)
	v_pk_add_f32 v[24:25], v[10:11], v[14:15]
	v_cndmask_b32_e64 v14, v105, v104, s14
	v_pk_add_f32 v[8:9], v[8:9], v[24:25]
	s_delay_alu instid0(VALU_DEP_1) | instskip(NEXT) | instid1(VALU_DEP_1)
	v_dual_mov_b32 v7, v24 :: v_dual_mov_b32 v11, v8
	v_pk_add_f32 v[50:51], v[10:11], v[76:77] neg_lo:[0,1] neg_hi:[0,1]
	s_delay_alu instid0(VALU_DEP_1) | instskip(NEXT) | instid1(VALU_DEP_2)
	v_sub_f32_e32 v5, v10, v50
	v_pk_add_f32 v[6:7], v[6:7], v[50:51] neg_lo:[0,1] neg_hi:[0,1]
	v_mov_b32_e32 v51, v58
	v_cndmask_b32_e64 v50, 0x7fc00000, v31, s3
	s_delay_alu instid0(VALU_DEP_4) | instskip(NEXT) | instid1(VALU_DEP_1)
	v_sub_f32_e32 v5, v76, v5
	v_add_f32_e32 v5, v6, v5
	s_delay_alu instid0(VALU_DEP_1) | instskip(NEXT) | instid1(VALU_DEP_1)
	v_add_f32_e32 v5, v5, v7
	v_add_f32_e32 v6, v8, v5
	s_delay_alu instid0(VALU_DEP_1) | instskip(NEXT) | instid1(VALU_DEP_1)
	v_sub_f32_e32 v7, v6, v8
	v_sub_f32_e32 v5, v5, v7
	v_mul_f32_e32 v7, v41, v6
	s_delay_alu instid0(VALU_DEP_1) | instskip(SKIP_1) | instid1(VALU_DEP_2)
	v_fma_f32 v6, v41, v6, -v7
	v_cmp_class_f32_e64 vcc_lo, v7, 0x204
	v_fmac_f32_e32 v6, v41, v5
	s_delay_alu instid0(VALU_DEP_1) | instskip(NEXT) | instid1(VALU_DEP_1)
	v_add_f32_e32 v5, v7, v6
	v_dual_sub_f32 v8, v5, v7 :: v_dual_cndmask_b32 v5, v5, v7
	s_delay_alu instid0(VALU_DEP_1) | instskip(NEXT) | instid1(VALU_DEP_2)
	v_sub_f32_e32 v6, v6, v8
	v_cmp_neq_f32_e64 vcc_lo, 0x7f800000, |v5|
	s_delay_alu instid0(VALU_DEP_2) | instskip(SKIP_1) | instid1(VALU_DEP_3)
	v_cndmask_b32_e32 v6, 0, v6, vcc_lo
	v_cmp_eq_f32_e32 vcc_lo, 0x42b17218, v5
	v_cndmask_b32_e64 v7, 0, 0x37000000, vcc_lo
	s_delay_alu instid0(VALU_DEP_1) | instskip(NEXT) | instid1(VALU_DEP_1)
	v_dual_sub_f32 v5, v5, v7 :: v_dual_add_f32 v6, v7, v6
	v_mul_f32_e32 v7, 0x3fb8aa3b, v5
	v_cmp_ngt_f32_e32 vcc_lo, 0xc2ce8ed0, v5
	s_delay_alu instid0(VALU_DEP_2) | instskip(SKIP_1) | instid1(VALU_DEP_2)
	v_fma_f32 v8, 0x3fb8aa3b, v5, -v7
	v_rndne_f32_e32 v9, v7
	v_fmac_f32_e32 v8, 0x32a5705f, v5
	s_delay_alu instid0(VALU_DEP_2) | instskip(NEXT) | instid1(VALU_DEP_1)
	v_sub_f32_e32 v7, v7, v9
	v_add_f32_e32 v7, v7, v8
	v_cvt_i32_f32_e32 v8, v9
	s_delay_alu instid0(VALU_DEP_2) | instskip(SKIP_1) | instid1(TRANS32_DEP_1)
	v_exp_f32_e32 v7, v7
	v_nop
	v_ldexp_f32 v7, v7, v8
	s_delay_alu instid0(VALU_DEP_1) | instskip(SKIP_1) | instid1(VALU_DEP_2)
	v_cndmask_b32_e32 v7, 0, v7, vcc_lo
	v_cmp_nlt_f32_e32 vcc_lo, 0x42b17218, v5
	v_cndmask_b32_e32 v5, 0x7f800000, v7, vcc_lo
	s_delay_alu instid0(VALU_DEP_1) | instskip(SKIP_1) | instid1(VALU_DEP_2)
	v_fma_f32 v6, v5, v6, v5
	v_cmp_class_f32_e64 vcc_lo, v5, 0x204
	v_cndmask_b32_e32 v5, v6, v5, vcc_lo
	v_trunc_f32_e32 v6, v41
	s_delay_alu instid0(VALU_DEP_1) | instskip(SKIP_1) | instid1(VALU_DEP_1)
	v_cmp_eq_f32_e32 vcc_lo, v6, v41
	v_mul_f32_e32 v6, 0.5, v41
	v_trunc_f32_e32 v7, v6
	s_delay_alu instid0(VALU_DEP_1) | instskip(SKIP_4) | instid1(VALU_DEP_2)
	v_cmp_neq_f32_e64 s15, v7, v6
	s_and_b32 vcc_lo, vcc_lo, s15
	v_cmp_class_f32_e64 s15, v41, 0x204
	v_dual_cndmask_b32 v6, 1.0, v43 :: v_dual_cndmask_b32 v7, 0, v43
	v_cmp_o_f32_e32 vcc_lo, v43, v41
	v_bfi_b32 v5, 0x7fffffff, v5, v6
	v_cndmask_b32_e64 v6, 0x7f800000, 0, s16
	v_cmp_neq_f32_e64 s16, |v43|, 1.0
	s_delay_alu instid0(VALU_DEP_1) | instskip(SKIP_1) | instid1(VALU_DEP_2)
	v_cndmask_b32_e64 v6, 1.0, v6, s16
	v_cmp_class_f32_e64 s16, v43, 0x204
	v_cndmask_b32_e64 v5, v5, v6, s15
	v_cmp_eq_f32_e64 s15, 0, v43
	s_or_b32 s16, s15, s16
	s_xor_b32 s15, s17, s15
	s_delay_alu instid0(SALU_CYCLE_1) | instskip(SKIP_1) | instid1(VALU_DEP_2)
	v_cndmask_b32_e64 v6, 0x7f800000, 0, s15
	v_cmp_lt_u32_e64 s15, 31, v107
	v_bfi_b32 v6, 0x7fffffff, v6, v7
	s_delay_alu instid0(VALU_DEP_2) | instskip(NEXT) | instid1(VALU_DEP_2)
	v_dual_mov_b32 v7, v58 :: v_dual_cndmask_b32 v10, v103, v54, s15
	v_cndmask_b32_e64 v5, v5, v6, s16
	s_delay_alu instid0(VALU_DEP_1) | instskip(SKIP_1) | instid1(VALU_DEP_2)
	v_cndmask_b32_e32 v6, 0x7fc00000, v5, vcc_lo
	v_cndmask_b32_e64 v5, v122, v124, s20
	v_mov_b32_e32 v41, v6
	s_delay_alu instid0(VALU_DEP_1) | instskip(SKIP_1) | instid1(VALU_DEP_4)
	v_pk_mul_f32 v[40:41], v[40:41], v[6:7]
	v_cndmask_b32_e64 v6, v123, v125, s20
	v_mul_f32_e32 v7, v5, v5
	s_delay_alu instid0(VALU_DEP_1) | instskip(NEXT) | instid1(VALU_DEP_1)
	v_fmaak_f32 v8, s30, v7, 0x3c0881c4
	v_fmaak_f32 v8, v7, v8, 0xbe2aaa9d
	s_delay_alu instid0(VALU_DEP_1) | instskip(NEXT) | instid1(VALU_DEP_1)
	v_mul_f32_e32 v8, v7, v8
	v_dual_fmac_f32 v5, v5, v8 :: v_dual_fmaak_f32 v8, s34, v7, 0xbab64f3b
	s_delay_alu instid0(VALU_DEP_1) | instskip(NEXT) | instid1(VALU_DEP_1)
	v_fmaak_f32 v8, v7, v8, 0x3d2aabf7
	v_fmaak_f32 v8, v7, v8, 0xbf000004
	s_delay_alu instid0(VALU_DEP_1) | instskip(SKIP_1) | instid1(VALU_DEP_1)
	v_fma_f32 v7, v7, v8, 1.0
	v_dual_lshlrev_b32 v6, 30, v6 :: v_dual_bitop2_b32 v8, 1, v6 bitop3:0x40
	v_cmp_eq_u32_e32 vcc_lo, 0, v8
	s_delay_alu instid0(VALU_DEP_2) | instskip(NEXT) | instid1(VALU_DEP_4)
	v_and_b32_e32 v6, 0x80000000, v6
	v_dual_cndmask_b32 v8, -v5, v7, vcc_lo :: v_dual_cndmask_b32 v5, v7, v5, vcc_lo
	v_cmp_lt_u32_e32 vcc_lo, 31, v108
	s_delay_alu instid0(VALU_DEP_2) | instskip(NEXT) | instid1(VALU_DEP_1)
	v_xor3_b32 v5, v120, v5, v121
	v_xor_b32_e32 v5, v6, v5
	s_delay_alu instid0(VALU_DEP_4) | instskip(NEXT) | instid1(VALU_DEP_2)
	v_xor_b32_e32 v7, v6, v8
	v_cndmask_b32_e64 v6, 0x7fc00000, v5, s21
	s_delay_alu instid0(VALU_DEP_2) | instskip(SKIP_1) | instid1(VALU_DEP_2)
	v_cndmask_b32_e64 v7, 0x7fc00000, v7, s21
	v_cndmask_b32_e64 v5, 0, 0xffffffe0, s15
	v_pk_mul_f32 v[42:43], v[42:43], v[6:7] op_sel_hi:[0,1]
	v_cndmask_b32_e64 v6, 0, 0xffffffe0, vcc_lo
	s_delay_alu instid0(VALU_DEP_3) | instskip(NEXT) | instid1(VALU_DEP_2)
	v_dual_add_nc_u32 v107, v5, v107 :: v_dual_cndmask_b32 v5, v71, v73, s13
	v_dual_add_nc_u32 v108, v6, v108 :: v_dual_cndmask_b32 v6, v104, v106, s14
	s_delay_alu instid0(VALU_DEP_2) | instskip(NEXT) | instid1(VALU_DEP_3)
	v_cndmask_b32_e64 v7, v5, v103, s15
	v_sub_nc_u32_e32 v8, 32, v107
	v_cmp_eq_u32_e64 s17, 0, v107
	v_cndmask_b32_e64 v11, v72, v71, s13
	v_cmp_gt_f32_e64 s13, 0x48000000, |v47|
	s_mov_b32 s14, 0x3ec54587
	v_sub_nc_u32_e32 v24, 32, v108
	v_alignbit_b32 v9, v7, v10, v8
	v_cndmask_b32_e32 v25, v6, v70, vcc_lo
	v_cmp_eq_u32_e64 s16, 0, v108
	v_dual_cndmask_b32 v6, v14, v6, vcc_lo :: v_dual_cndmask_b32 v5, v11, v5, s15
	s_delay_alu instid0(VALU_DEP_4) | instskip(NEXT) | instid1(VALU_DEP_2)
	v_cndmask_b32_e64 v9, v9, v7, s17
	v_alignbit_b32 v11, v6, v25, v24
	s_delay_alu instid0(VALU_DEP_1) | instskip(NEXT) | instid1(VALU_DEP_4)
	v_cndmask_b32_e64 v73, v11, v6, s16
	v_alignbit_b32 v7, v5, v7, v8
	s_delay_alu instid0(VALU_DEP_2) | instskip(NEXT) | instid1(VALU_DEP_2)
	v_lshrrev_b32_e32 v71, 30, v73
	v_dual_cndmask_b32 v80, v7, v5, s17 :: v_dual_cndmask_b32 v7, v54, v55, s15
	v_lshrrev_b32_e32 v31, 29, v73
	s_delay_alu instid0(VALU_DEP_2) | instskip(SKIP_4) | instid1(VALU_DEP_4)
	v_alignbit_b32 v5, v80, v9, 30
	v_bfe_i32 v6, v80, 29, 1
	v_lshrrev_b32_e32 v72, 29, v80
	v_alignbit_b32 v8, v10, v7, v8
	v_dual_lshrrev_b32 v14, 30, v80 :: v_dual_lshlrev_b32 v76, 31, v31
	v_xor_b32_e32 v5, v5, v6
	s_delay_alu instid0(VALU_DEP_3) | instskip(NEXT) | instid1(VALU_DEP_2)
	v_cndmask_b32_e64 v8, v8, v10, s17
	v_clz_i32_u32_e32 v10, v5
	s_delay_alu instid0(VALU_DEP_2) | instskip(SKIP_1) | instid1(VALU_DEP_3)
	v_alignbit_b32 v9, v9, v8, 30
	v_alignbit_b32 v7, v8, v7, 30
	v_min_u32_e32 v11, 32, v10
	s_delay_alu instid0(VALU_DEP_3) | instskip(NEXT) | instid1(VALU_DEP_2)
	v_xor_b32_e32 v9, v9, v6
	v_dual_sub_nc_u32 v10, 31, v11 :: v_dual_bitop2_b32 v6, v7, v6 bitop3:0x14
	s_delay_alu instid0(VALU_DEP_1) | instskip(NEXT) | instid1(VALU_DEP_2)
	v_alignbit_b32 v5, v5, v9, v10
	v_alignbit_b32 v6, v9, v6, v10
	s_delay_alu instid0(VALU_DEP_1) | instskip(NEXT) | instid1(VALU_DEP_1)
	v_alignbit_b32 v7, v5, v6, 9
	v_clz_i32_u32_e32 v8, v7
	s_delay_alu instid0(VALU_DEP_1) | instskip(NEXT) | instid1(VALU_DEP_1)
	v_min_u32_e32 v8, 32, v8
	v_not_b32_e32 v9, v8
	v_add_lshl_u32 v8, v8, v11, 23
	s_delay_alu instid0(VALU_DEP_2) | instskip(NEXT) | instid1(VALU_DEP_1)
	v_alignbit_b32 v6, v7, v6, v9
	v_dual_lshrrev_b32 v10, 9, v6 :: v_dual_lshlrev_b32 v6, 31, v72
	v_lshrrev_b32_e32 v5, 9, v5
	s_delay_alu instid0(VALU_DEP_2) | instskip(NEXT) | instid1(VALU_DEP_1)
	v_or_b32_e32 v7, 0x33000000, v6
	v_dual_sub_nc_u32 v54, v7, v8 :: v_dual_bitop2_b32 v6, 0.5, v6 bitop3:0x54
	v_lshlrev_b32_e32 v7, 23, v11
	v_bfe_i32 v11, v73, 29, 1
	s_delay_alu instid0(VALU_DEP_3) | instskip(NEXT) | instid1(VALU_DEP_3)
	v_or_b32_e32 v10, v54, v10
	v_sub_nc_u32_e32 v6, v6, v7
	s_delay_alu instid0(VALU_DEP_1) | instskip(NEXT) | instid1(VALU_DEP_1)
	v_dual_cndmask_b32 v7, v70, v52, vcc_lo :: v_dual_bitop2_b32 v6, v5, v6 bitop3:0x54
	v_alignbit_b32 v8, v25, v7, v24
	v_mul_f32_e64 v5, 0x3f22f983, |v46|
	s_delay_alu instid0(VALU_DEP_2) | instskip(SKIP_1) | instid1(VALU_DEP_3)
	v_cndmask_b32_e64 v8, v8, v25, s16
	v_cndmask_b32_e32 v25, v52, v53, vcc_lo
	v_rndne_f32_e32 v52, v5
	v_cmp_gt_f32_e64 vcc_lo, 0x48000000, |v46|
	s_delay_alu instid0(VALU_DEP_4) | instskip(NEXT) | instid1(VALU_DEP_4)
	v_alignbit_b32 v9, v73, v8, 30
	v_alignbit_b32 v24, v7, v25, v24
	s_delay_alu instid0(VALU_DEP_2) | instskip(NEXT) | instid1(VALU_DEP_2)
	v_xor_b32_e32 v9, v9, v11
	v_cndmask_b32_e64 v24, v24, v7, s16
	s_delay_alu instid0(VALU_DEP_1) | instskip(SKIP_1) | instid1(VALU_DEP_2)
	v_alignbit_b32 v7, v8, v24, 30
	v_or_b32_e32 v8, 0.5, v76
	v_xor_b32_e32 v53, v7, v11
	v_clz_i32_u32_e32 v7, v9
	s_delay_alu instid0(VALU_DEP_1) | instskip(NEXT) | instid1(VALU_DEP_1)
	v_min_u32_e32 v55, 32, v7
	v_sub_nc_u32_e32 v70, 31, v55
	s_delay_alu instid0(VALU_DEP_1) | instskip(NEXT) | instid1(VALU_DEP_1)
	v_alignbit_b32 v73, v9, v53, v70
	v_dual_lshlrev_b32 v9, 23, v55 :: v_dual_lshrrev_b32 v7, 9, v73
	v_alignbit_b32 v5, v24, v25, 30
	s_delay_alu instid0(VALU_DEP_1) | instskip(NEXT) | instid1(VALU_DEP_1)
	v_dual_sub_nc_u32 v8, v8, v9 :: v_dual_bitop2_b32 v5, v5, v11 bitop3:0x14
	v_or_b32_e32 v7, v7, v8
	s_delay_alu instid0(VALU_DEP_2) | instskip(NEXT) | instid1(VALU_DEP_1)
	v_alignbit_b32 v5, v53, v5, v70
	v_alignbit_b32 v11, v73, v5, 9
	s_delay_alu instid0(VALU_DEP_1) | instskip(NEXT) | instid1(VALU_DEP_1)
	v_clz_i32_u32_e32 v24, v11
	v_min_u32_e32 v24, 32, v24
	s_delay_alu instid0(VALU_DEP_1) | instskip(SKIP_1) | instid1(VALU_DEP_2)
	v_not_b32_e32 v25, v24
	v_add_lshl_u32 v24, v24, v55, 23
	v_alignbit_b32 v5, v11, v5, v25
	v_or_b32_e32 v11, 0x33000000, v76
	s_delay_alu instid0(VALU_DEP_1) | instskip(SKIP_1) | instid1(VALU_DEP_2)
	v_dual_lshrrev_b32 v5, 9, v5 :: v_dual_sub_nc_u32 v11, v11, v24
	v_pk_mul_f32 v[8:9], v[6:7], s[44:45] op_sel_hi:[1,0]
	v_or_b32_e32 v11, v11, v5
	s_delay_alu instid0(VALU_DEP_2) | instskip(SKIP_1) | instid1(VALU_DEP_2)
	v_pk_fma_f32 v[24:25], v[6:7], s[44:45], v[8:9] op_sel_hi:[1,0,1] neg_lo:[0,0,1] neg_hi:[0,0,1]
	v_mul_f32_e64 v5, 0x3f22f983, |v47|
	v_pk_fma_f32 v[6:7], v[6:7], s[46:47], v[24:25] op_sel_hi:[1,0,1]
	v_add_nc_u32_e32 v24, v71, v31
	s_delay_alu instid0(VALU_DEP_3)
	v_rndne_f32_e32 v53, v5
	v_cvt_i32_f32_e32 v5, v52
	v_mov_b32_e32 v25, v15
	v_pk_fma_f32 v[6:7], v[10:11], s[44:45], v[6:7] op_sel_hi:[1,0,1]
	v_add_nc_u32_e32 v10, v72, v14
	v_cvt_i32_f32_e32 v11, v53
	s_delay_alu instid0(VALU_DEP_3) | instskip(SKIP_1) | instid1(VALU_DEP_3)
	v_pk_add_f32 v[54:55], v[8:9], v[6:7]
	v_pk_fma_f32 v[6:7], v[52:53], s[42:43], v[48:49] op_sel_hi:[1,0,1]
	v_dual_cndmask_b32 v5, v10, v5, vcc_lo :: v_dual_cndmask_b32 v11, v24, v11, s13
	s_delay_alu instid0(VALU_DEP_2) | instskip(NEXT) | instid1(VALU_DEP_2)
	v_pk_fma_f32 v[6:7], v[52:53], s[40:41], v[6:7] op_sel_hi:[1,0,1]
	v_and_b32_e32 v5, 1, v5
	s_delay_alu instid0(VALU_DEP_2) | instskip(NEXT) | instid1(VALU_DEP_1)
	v_pk_fma_f32 v[6:7], v[52:53], s[38:39], v[6:7] op_sel_hi:[1,0,1]
	v_dual_cndmask_b32 v7, v55, v7, s13 :: v_dual_cndmask_b32 v6, v54, v6, vcc_lo
	s_delay_alu instid0(VALU_DEP_3) | instskip(NEXT) | instid1(VALU_DEP_2)
	v_cmp_eq_u32_e32 vcc_lo, 0, v5
	v_pk_mul_f32 v[8:9], v[6:7], v[6:7]
	s_delay_alu instid0(VALU_DEP_1) | instskip(NEXT) | instid1(VALU_DEP_2)
	v_fmaak_f32 v14, s23, v8, 0xbf039337
	v_pk_fma_f32 v[54:55], v[8:9], s[36:37], s[14:15] op_sel_hi:[1,0,0]
	s_delay_alu instid0(VALU_DEP_2) | instskip(NEXT) | instid1(VALU_DEP_1)
	v_fmaak_f32 v14, v8, v14, 0x3f93f425
	v_rcp_f32_e32 v52, v14
	v_nop
	v_fmaak_f32 v14, s23, v9, 0xbf039337
	s_delay_alu instid0(VALU_DEP_1) | instskip(NEXT) | instid1(VALU_DEP_1)
	v_fmaak_f32 v14, v9, v14, 0x3f93f425
	v_rcp_f32_e32 v53, v14
	v_nop
	s_delay_alu instid0(TRANS32_DEP_1) | instskip(NEXT) | instid1(VALU_DEP_1)
	v_pk_mul_f32 v[52:53], v[54:55], v[52:53]
	v_pk_mul_f32 v[8:9], v[8:9], v[52:53]
	s_delay_alu instid0(VALU_DEP_1) | instskip(SKIP_1) | instid1(VALU_DEP_2)
	v_pk_fma_f32 v[52:53], v[8:9], v[6:7], v[6:7]
	v_and_b32_e32 v14, 1, v11
	v_rcp_f32_e32 v54, v52
	s_delay_alu instid0(VALU_DEP_2) | instskip(SKIP_1) | instid1(VALU_DEP_2)
	v_rcp_f32_e32 v55, v53
	v_pk_add_f32 v[10:11], v[52:53], v[6:7] neg_lo:[0,1] neg_hi:[0,1]
	v_cmp_eq_u32_e64 s13, 0, v14
	s_delay_alu instid0(VALU_DEP_2) | instskip(NEXT) | instid1(TRANS32_DEP_1)
	v_pk_fma_f32 v[6:7], v[8:9], v[6:7], v[10:11] neg_lo:[0,0,1] neg_hi:[0,0,1]
	v_pk_fma_f32 v[8:9], v[52:53], v[54:55], 1.0 op_sel_hi:[1,1,0] neg_lo:[0,1,0] neg_hi:[0,1,0]
	v_mov_b32_e32 v11, v15
	s_delay_alu instid0(VALU_DEP_2) | instskip(SKIP_1) | instid1(VALU_DEP_2)
	v_pk_fma_f32 v[6:7], v[6:7], v[54:55], v[8:9] neg_lo:[0,1,0] neg_hi:[0,1,0]
	v_mov_b32_e32 v9, v15
	v_pk_fma_f32 v[6:7], v[6:7], v[54:55], v[54:55] neg_lo:[0,1,1] neg_hi:[0,1,1]
	s_delay_alu instid0(VALU_DEP_1) | instskip(NEXT) | instid1(VALU_DEP_1)
	v_dual_cndmask_b32 v5, v7, v53, s13 :: v_dual_cndmask_b32 v6, v6, v52, vcc_lo
	v_xor_b32_e32 v5, v47, v5
	s_delay_alu instid0(VALU_DEP_2) | instskip(NEXT) | instid1(VALU_DEP_2)
	v_dual_mov_b32 v47, v15 :: v_dual_bitop2_b32 v6, v46, v6 bitop3:0x14
	v_xor_b32_e32 v5, v5, v49
	s_delay_alu instid0(VALU_DEP_2) | instskip(NEXT) | instid1(VALU_DEP_2)
	v_dual_mov_b32 v49, v15 :: v_dual_bitop2_b32 v6, v6, v48 bitop3:0x14
	v_cndmask_b32_e64 v107, 0x7fc00000, v5, s11
	s_delay_alu instid0(VALU_DEP_2) | instskip(NEXT) | instid1(VALU_DEP_2)
	v_cndmask_b32_e64 v108, 0x7fc00000, v6, s10
	v_and_b32_e32 v70, 0x7fffffff, v107
	s_delay_alu instid0(VALU_DEP_2) | instskip(NEXT) | instid1(VALU_DEP_1)
	v_and_b32_e32 v71, 0x7fffffff, v108
	v_lshrrev_b32_e32 v5, 23, v71
	v_and_or_b32 v14, v71, s31, 0x800000
	s_delay_alu instid0(VALU_DEP_2) | instskip(NEXT) | instid1(VALU_DEP_1)
	v_add_nc_u32_e32 v5, 0xffffff88, v5
	v_cmp_lt_u32_e32 vcc_lo, 63, v5
	v_cndmask_b32_e64 v6, 0, 0xffffffc0, vcc_lo
	s_delay_alu instid0(VALU_DEP_1) | instskip(NEXT) | instid1(VALU_DEP_1)
	v_add_nc_u32_e32 v5, v6, v5
	v_cmp_lt_u32_e64 s10, 31, v5
	s_delay_alu instid0(VALU_DEP_1) | instskip(NEXT) | instid1(VALU_DEP_1)
	v_cndmask_b32_e64 v6, 0, 0xffffffe0, s10
	v_add_nc_u32_e32 v5, v6, v5
	s_delay_alu instid0(VALU_DEP_1) | instskip(NEXT) | instid1(VALU_DEP_1)
	v_cmp_lt_u32_e64 s11, 31, v5
	v_cndmask_b32_e64 v6, 0, 0xffffffe0, s11
	s_delay_alu instid0(VALU_DEP_1) | instskip(SKIP_1) | instid1(VALU_DEP_2)
	v_add_nc_u32_e32 v5, v6, v5
	v_mul_u64_e32 v[6:7], s[28:29], v[14:15]
	v_cmp_eq_u32_e64 s13, 0, v5
	s_delay_alu instid0(VALU_DEP_2) | instskip(NEXT) | instid1(VALU_DEP_1)
	v_dual_mov_b32 v8, v7 :: v_dual_sub_nc_u32 v5, 32, v5
	v_mad_nc_u64_u32 v[8:9], 0x3c439041, v14, v[8:9]
	s_delay_alu instid0(VALU_DEP_1) | instskip(NEXT) | instid1(VALU_DEP_1)
	v_mov_b32_e32 v10, v9
	v_mad_nc_u64_u32 v[10:11], 0xdb629599, v14, v[10:11]
	s_delay_alu instid0(VALU_DEP_1) | instskip(NEXT) | instid1(VALU_DEP_1)
	v_dual_mov_b32 v24, v11 :: v_dual_cndmask_b32 v6, v10, v6, vcc_lo
	v_mad_nc_u64_u32 v[24:25], 0xf534ddc0, v14, v[24:25]
	s_delay_alu instid0(VALU_DEP_1) | instskip(NEXT) | instid1(VALU_DEP_1)
	v_dual_mov_b32 v46, v25 :: v_dual_cndmask_b32 v8, v24, v8, vcc_lo
	v_mad_nc_u64_u32 v[46:47], 0xfc2757d1, v14, v[46:47]
	s_delay_alu instid0(VALU_DEP_1) | instskip(SKIP_1) | instid1(VALU_DEP_2)
	v_dual_mov_b32 v53, v15 :: v_dual_mov_b32 v48, v47
	v_mov_b32_e32 v47, v15
	v_mad_nc_u64_u32 v[48:49], 0x4e441529, v14, v[48:49]
	s_delay_alu instid0(VALU_DEP_1) | instskip(NEXT) | instid1(VALU_DEP_1)
	v_dual_cndmask_b32 v7, v48, v24 :: v_dual_mov_b32 v52, v49
	v_mad_nc_u64_u32 v[52:53], 0xa2f9836e, v14, v[52:53]
	s_delay_alu instid0(VALU_DEP_1) | instskip(NEXT) | instid1(VALU_DEP_1)
	v_dual_cndmask_b32 v9, v52, v46 :: v_dual_cndmask_b32 v14, v53, v48
	v_dual_mov_b32 v53, v15 :: v_dual_cndmask_b32 v11, v9, v7, s10
	s_delay_alu instid0(VALU_DEP_2) | instskip(NEXT) | instid1(VALU_DEP_1)
	v_cndmask_b32_e64 v9, v14, v9, s10
	v_dual_cndmask_b32 v14, v46, v10, vcc_lo :: v_dual_cndmask_b32 v9, v9, v11, s11
	s_delay_alu instid0(VALU_DEP_1) | instskip(NEXT) | instid1(VALU_DEP_1)
	v_cndmask_b32_e64 v7, v7, v14, s10
	v_cndmask_b32_e64 v11, v11, v7, s11
	s_delay_alu instid0(VALU_DEP_1) | instskip(NEXT) | instid1(VALU_DEP_1)
	v_alignbit_b32 v25, v9, v11, v5
	v_dual_cndmask_b32 v120, v25, v9, s13 :: v_dual_cndmask_b32 v9, v14, v8, s10
	s_delay_alu instid0(VALU_DEP_1) | instskip(NEXT) | instid1(VALU_DEP_2)
	v_dual_mov_b32 v25, v15 :: v_dual_lshrrev_b32 v114, 30, v120
	v_dual_cndmask_b32 v7, v7, v9, s11 :: v_dual_cndmask_b32 v6, v8, v6, s10
	v_bfe_u32 v123, v120, 29, 1
	s_delay_alu instid0(VALU_DEP_2) | instskip(NEXT) | instid1(VALU_DEP_2)
	v_alignbit_b32 v14, v11, v7, v5
	v_sub_nc_u32_e32 v126, 0, v123
	s_delay_alu instid0(VALU_DEP_2) | instskip(SKIP_2) | instid1(VALU_DEP_3)
	v_dual_cndmask_b32 v115, v14, v11, s13 :: v_dual_cndmask_b32 v6, v9, v6, s11
	v_dual_mov_b32 v9, v15 :: v_dual_mov_b32 v11, v15
	v_and_or_b32 v14, v70, s31, 0x800000
	v_alignbit_b32 v5, v7, v6, v5
	s_delay_alu instid0(VALU_DEP_1) | instskip(SKIP_1) | instid1(VALU_DEP_2)
	v_cndmask_b32_e64 v116, v5, v7, s13
	v_mul_f32_e64 v5, 0x3f22f983, |v108|
	v_alignbit_b32 v121, v116, v6, 30
	s_delay_alu instid0(VALU_DEP_2) | instskip(SKIP_1) | instid1(VALU_DEP_2)
	v_rndne_f32_e32 v73, v5
	v_lshrrev_b32_e32 v5, 23, v70
	v_cvt_i32_f32_e32 v109, v73
	s_delay_alu instid0(VALU_DEP_2) | instskip(NEXT) | instid1(VALU_DEP_1)
	v_add_nc_u32_e32 v5, 0xffffff88, v5
	v_cmp_lt_u32_e32 vcc_lo, 63, v5
	v_cndmask_b32_e64 v6, 0, 0xffffffc0, vcc_lo
	s_delay_alu instid0(VALU_DEP_1) | instskip(NEXT) | instid1(VALU_DEP_1)
	v_add_nc_u32_e32 v5, v6, v5
	v_cmp_lt_u32_e64 s10, 31, v5
	s_delay_alu instid0(VALU_DEP_1) | instskip(NEXT) | instid1(VALU_DEP_1)
	v_cndmask_b32_e64 v6, 0, 0xffffffe0, s10
	v_add_nc_u32_e32 v5, v6, v5
	s_delay_alu instid0(VALU_DEP_1) | instskip(NEXT) | instid1(VALU_DEP_1)
	v_cmp_lt_u32_e64 s11, 31, v5
	v_cndmask_b32_e64 v6, 0, 0xffffffe0, s11
	s_delay_alu instid0(VALU_DEP_1) | instskip(SKIP_1) | instid1(VALU_DEP_1)
	v_add_nc_u32_e32 v5, v6, v5
	v_mul_u64_e32 v[6:7], s[28:29], v[14:15]
	v_mov_b32_e32 v8, v7
	s_delay_alu instid0(VALU_DEP_1) | instskip(NEXT) | instid1(VALU_DEP_1)
	v_mad_nc_u64_u32 v[8:9], 0x3c439041, v14, v[8:9]
	v_mov_b32_e32 v10, v9
	s_delay_alu instid0(VALU_DEP_1) | instskip(NEXT) | instid1(VALU_DEP_1)
	v_mad_nc_u64_u32 v[10:11], 0xdb629599, v14, v[10:11]
	v_mov_b32_e32 v24, v11
	v_cmp_eq_u32_e64 s13, 0, v5
	v_sub_nc_u32_e32 v5, 32, v5
	s_delay_alu instid0(VALU_DEP_3) | instskip(NEXT) | instid1(VALU_DEP_1)
	v_mad_nc_u64_u32 v[24:25], 0xf534ddc0, v14, v[24:25]
	v_dual_mov_b32 v49, v15 :: v_dual_mov_b32 v46, v25
	s_delay_alu instid0(VALU_DEP_1) | instskip(NEXT) | instid1(VALU_DEP_1)
	v_mad_nc_u64_u32 v[46:47], 0xfc2757d1, v14, v[46:47]
	v_dual_mov_b32 v48, v47 :: v_dual_mov_b32 v47, 0x3f2aaaaa
	s_delay_alu instid0(VALU_DEP_1) | instskip(NEXT) | instid1(VALU_DEP_1)
	v_mad_nc_u64_u32 v[48:49], 0x4e441529, v14, v[48:49]
	v_dual_mov_b32 v52, v49 :: v_dual_cndmask_b32 v7, v48, v24
	s_delay_alu instid0(VALU_DEP_1) | instskip(NEXT) | instid1(VALU_DEP_1)
	v_mad_nc_u64_u32 v[52:53], 0xa2f9836e, v14, v[52:53]
	v_dual_cndmask_b32 v9, v52, v46 :: v_dual_cndmask_b32 v14, v53, v48
	v_mov_b64_e32 v[48:49], s[18:19]
	v_mov_b64_e32 v[52:53], 0xbf2aaaaa31739010
	s_delay_alu instid0(VALU_DEP_3) | instskip(NEXT) | instid1(VALU_DEP_1)
	v_dual_cndmask_b32 v11, v9, v7, s10 :: v_dual_cndmask_b32 v9, v14, v9, s10
	v_dual_cndmask_b32 v14, v46, v10, vcc_lo :: v_dual_cndmask_b32 v9, v9, v11, s11
	s_delay_alu instid0(VALU_DEP_1) | instskip(NEXT) | instid1(VALU_DEP_1)
	v_dual_cndmask_b32 v7, v7, v14, s10 :: v_dual_cndmask_b32 v8, v24, v8, vcc_lo
	v_cndmask_b32_e64 v11, v11, v7, s11
	s_delay_alu instid0(VALU_DEP_1) | instskip(NEXT) | instid1(VALU_DEP_1)
	v_alignbit_b32 v25, v9, v11, v5
	v_dual_cndmask_b32 v122, v25, v9, s13 :: v_dual_cndmask_b32 v9, v14, v8, s10
	s_delay_alu instid0(VALU_DEP_1) | instskip(SKIP_1) | instid1(VALU_DEP_2)
	v_dual_lshrrev_b32 v113, 30, v122 :: v_dual_cndmask_b32 v7, v7, v9, s11
	v_cndmask_b32_e32 v6, v10, v6, vcc_lo
	v_alignbit_b32 v14, v11, v7, v5
	s_delay_alu instid0(VALU_DEP_2) | instskip(SKIP_1) | instid1(VALU_DEP_2)
	v_cndmask_b32_e64 v6, v8, v6, s10
	v_cmp_class_f32_e64 s10, v107, 0x1f8
	v_dual_cndmask_b32 v118, v14, v11, s13 :: v_dual_cndmask_b32 v6, v9, v6, s11
	v_cmp_class_f32_e64 s11, v108, 0x1f8
	s_delay_alu instid0(VALU_DEP_2) | instskip(NEXT) | instid1(VALU_DEP_1)
	v_alignbit_b32 v5, v7, v6, v5
	v_cndmask_b32_e64 v119, v5, v7, s13
	v_mul_f32_e64 v5, 0x3f22f983, |v107|
	s_delay_alu instid0(VALU_DEP_1) | instskip(SKIP_1) | instid1(VALU_DEP_2)
	v_rndne_f32_e32 v72, v5
	v_cndmask_b32_e64 v5, v98, v100, s7
	v_cvt_i32_f32_e32 v112, v72
	s_delay_alu instid0(VALU_DEP_2) | instskip(NEXT) | instid1(VALU_DEP_1)
	v_mul_f32_e32 v7, v5, v5
	v_fmaak_f32 v8, s30, v7, 0x3c0881c4
	s_delay_alu instid0(VALU_DEP_1) | instskip(NEXT) | instid1(VALU_DEP_1)
	v_fmaak_f32 v8, v7, v8, 0xbe2aaa9d
	v_mul_f32_e32 v8, v7, v8
	v_alignbit_b32 v117, v119, v6, 30
	v_cndmask_b32_e64 v6, v99, v101, s7
	v_dual_mov_b32 v99, v15 :: v_dual_mov_b32 v101, v15
	s_delay_alu instid0(VALU_DEP_4) | instskip(NEXT) | instid1(VALU_DEP_1)
	v_dual_fmac_f32 v5, v5, v8 :: v_dual_fmaak_f32 v8, s34, v7, 0xbab64f3b
	v_fmaak_f32 v8, v7, v8, 0x3d2aabf7
	s_delay_alu instid0(VALU_DEP_1) | instskip(NEXT) | instid1(VALU_DEP_1)
	v_fmaak_f32 v8, v7, v8, 0xbf000004
	v_fma_f32 v7, v7, v8, 1.0
	v_dual_lshlrev_b32 v6, 30, v6 :: v_dual_bitop2_b32 v8, 1, v6 bitop3:0x40
	s_delay_alu instid0(VALU_DEP_1) | instskip(NEXT) | instid1(VALU_DEP_2)
	v_cmp_eq_u32_e32 vcc_lo, 0, v8
	v_and_b32_e32 v6, 0x80000000, v6
	s_delay_alu instid0(VALU_DEP_4) | instskip(NEXT) | instid1(VALU_DEP_1)
	v_cndmask_b32_e32 v5, v7, v5, vcc_lo
	v_xor3_b32 v5, v6, v56, v5
	s_delay_alu instid0(VALU_DEP_1) | instskip(NEXT) | instid1(VALU_DEP_1)
	v_dual_lshlrev_b32 v6, 30, v87 :: v_dual_bitop2_b32 v5, v5, v57 bitop3:0x14
	v_and_b32_e32 v31, 0x80000000, v6
	s_delay_alu instid0(VALU_DEP_2) | instskip(NEXT) | instid1(VALU_DEP_2)
	v_cndmask_b32_e64 v57, 0x7fc00000, v5, s12
	v_dual_mul_f32 v88, v20, v58 :: v_dual_bitop2_b32 v6, v31, v88 bitop3:0x14
	s_delay_alu instid0(VALU_DEP_2) | instskip(SKIP_1) | instid1(VALU_DEP_3)
	v_cmp_eq_f32_e32 vcc_lo, 1.0, v57
	v_frexp_mant_f32_e64 v5, |v57|
	v_cndmask_b32_e64 v56, 0x7fc00000, v6, s8
	v_cmp_gt_f32_e64 s12, 0, v57
	v_cndmask_b32_e64 v80, 0x40400000, 1.0, vcc_lo
	s_delay_alu instid0(VALU_DEP_4) | instskip(SKIP_1) | instid1(VALU_DEP_1)
	v_cmp_gt_f32_e32 vcc_lo, 0x3f2aaaab, v5
	v_cndmask_b32_e64 v6, 1.0, 2.0, vcc_lo
	v_mul_f32_e32 v5, v5, v6
	s_delay_alu instid0(VALU_DEP_1) | instskip(NEXT) | instid1(VALU_DEP_1)
	v_add_f32_e32 v6, 1.0, v5
	v_add_f32_e32 v7, -1.0, v6
	v_rcp_f32_e32 v14, v6
	s_delay_alu instid0(VALU_DEP_1)
	v_dual_sub_f32 v9, v5, v7 :: v_dual_add_f32 v7, -1.0, v5
	s_delay_alu instid0(TRANS32_DEP_1) | instid1(VALU_DEP_1)
	v_mul_f32_e32 v5, v7, v14
	s_delay_alu instid0(VALU_DEP_1) | instskip(NEXT) | instid1(VALU_DEP_1)
	v_mul_f32_e32 v8, v6, v5
	v_fma_f32 v10, v5, v6, -v8
	s_delay_alu instid0(VALU_DEP_1) | instskip(NEXT) | instid1(VALU_DEP_1)
	v_fmac_f32_e32 v10, v5, v9
	v_add_f32_e32 v6, v8, v10
	s_delay_alu instid0(VALU_DEP_1) | instskip(NEXT) | instid1(VALU_DEP_1)
	v_dual_sub_f32 v9, v7, v6 :: v_dual_mov_b32 v11, v6
	v_pk_add_f32 v[24:25], v[6:7], v[8:9] neg_lo:[0,1] neg_hi:[0,1]
	s_delay_alu instid0(VALU_DEP_1) | instskip(NEXT) | instid1(VALU_DEP_1)
	v_pk_add_f32 v[6:7], v[24:25], v[10:11] neg_lo:[0,1] neg_hi:[0,1]
	v_add_f32_e32 v6, v6, v7
	s_delay_alu instid0(VALU_DEP_1) | instskip(NEXT) | instid1(VALU_DEP_1)
	v_add_f32_e32 v6, v9, v6
	v_mul_f32_e32 v7, v14, v6
	s_delay_alu instid0(VALU_DEP_1) | instskip(NEXT) | instid1(VALU_DEP_1)
	v_add_f32_e32 v6, v5, v7
	v_sub_f32_e32 v5, v6, v5
	s_delay_alu instid0(VALU_DEP_1) | instskip(NEXT) | instid1(VALU_DEP_1)
	v_sub_f32_e32 v14, v7, v5
	v_add_f32_e32 v8, v14, v14
	v_mul_f32_e32 v5, v6, v6
	s_delay_alu instid0(VALU_DEP_1) | instskip(NEXT) | instid1(VALU_DEP_1)
	v_fma_f32 v7, v6, v6, -v5
	v_fmac_f32_e32 v7, v6, v8
	s_delay_alu instid0(VALU_DEP_1) | instskip(NEXT) | instid1(VALU_DEP_1)
	v_add_f32_e32 v8, v5, v7
	v_fmaak_f32 v9, s18, v8, 0x3e91f4c4
	v_sub_f32_e32 v5, v8, v5
	s_delay_alu instid0(VALU_DEP_2) | instskip(NEXT) | instid1(VALU_DEP_2)
	v_fmaak_f32 v9, v8, v9, 0x3ecccdef
	v_sub_f32_e32 v76, v7, v5
	s_delay_alu instid0(VALU_DEP_2) | instskip(NEXT) | instid1(VALU_DEP_1)
	v_mul_f32_e32 v5, v8, v9
	v_fma_f32 v46, v8, v9, -v5
	s_delay_alu instid0(VALU_DEP_1) | instskip(NEXT) | instid1(VALU_DEP_1)
	v_fmac_f32_e32 v46, v76, v9
	v_add_f32_e32 v11, v5, v46
	s_delay_alu instid0(VALU_DEP_1) | instskip(NEXT) | instid1(VALU_DEP_1)
	v_sub_f32_e32 v10, v11, v5
	v_pk_add_f32 v[54:55], v[10:11], v[48:49]
	v_pk_add_f32 v[24:25], v[46:47], v[10:11] neg_lo:[0,1] neg_hi:[0,1]
	s_delay_alu instid0(VALU_DEP_2) | instskip(NEXT) | instid1(VALU_DEP_1)
	v_mov_b32_e32 v25, v55
	v_pk_add_f32 v[24:25], v[24:25], v[52:53]
	s_delay_alu instid0(VALU_DEP_1) | instskip(SKIP_1) | instid1(VALU_DEP_2)
	v_dual_sub_f32 v9, v11, v25 :: v_dual_mov_b32 v5, v24
	v_mov_b32_e32 v7, v24
	v_pk_add_f32 v[24:25], v[4:5], v[8:9]
	s_delay_alu instid0(VALU_DEP_2) | instskip(NEXT) | instid1(VALU_DEP_1)
	v_pk_mul_f32 v[10:11], v[6:7], v[8:9]
	v_dual_mov_b32 v11, v25 :: v_dual_fma_f32 v54, v8, v6, -v10
	s_delay_alu instid0(VALU_DEP_1) | instskip(NEXT) | instid1(VALU_DEP_1)
	v_fmac_f32_e32 v54, v8, v14
	v_fmac_f32_e32 v54, v76, v6
	s_delay_alu instid0(VALU_DEP_1) | instskip(NEXT) | instid1(VALU_DEP_1)
	v_pk_add_f32 v[8:9], v[10:11], v[54:55]
	v_dual_sub_f32 v5, v8, v10 :: v_dual_mov_b32 v10, v9
	v_sub_f32_e32 v7, v55, v9
	v_ldexp_f32 v55, v6, 1
	s_delay_alu instid0(VALU_DEP_3) | instskip(NEXT) | instid1(VALU_DEP_2)
	v_pk_mul_f32 v[10:11], v[8:9], v[10:11]
	v_dual_add_f32 v7, v25, v7 :: v_dual_mov_b32 v11, v55
	s_delay_alu instid0(VALU_DEP_2) | instskip(NEXT) | instid1(VALU_DEP_1)
	v_fma_f32 v24, v8, v9, -v10
	v_dual_sub_f32 v5, v54, v5 :: v_dual_fmac_f32 v24, v8, v7
	s_delay_alu instid0(VALU_DEP_1) | instskip(SKIP_1) | instid1(VALU_DEP_1)
	v_fmac_f32_e32 v24, v5, v9
	v_cvt_f64_f32_e64 v[8:9], |v57|
	v_frexp_exp_i32_f64_e32 v5, v[8:9]
	s_delay_alu instid0(VALU_DEP_3) | instskip(NEXT) | instid1(VALU_DEP_1)
	v_add_f32_e32 v9, v10, v24
	v_mov_b32_e32 v76, v9
	s_delay_alu instid0(VALU_DEP_3) | instskip(NEXT) | instid1(VALU_DEP_1)
	v_subrev_co_ci_u32_e64 v5, null, 0, v5, vcc_lo
	v_cvt_f32_i32_e32 v5, v5
	s_delay_alu instid0(VALU_DEP_1) | instskip(NEXT) | instid1(VALU_DEP_1)
	v_mul_f32_e32 v8, 0x3f317218, v5
	v_fma_f32 v54, 0x3f317218, v5, -v8
	s_delay_alu instid0(VALU_DEP_1) | instskip(SKIP_1) | instid1(VALU_DEP_2)
	v_fmac_f32_e32 v54, 0xb102e308, v5
	v_ldexp_f32 v5, v14, 1
	v_pk_add_f32 v[6:7], v[8:9], v[54:55]
	s_delay_alu instid0(VALU_DEP_1) | instskip(NEXT) | instid1(VALU_DEP_2)
	v_dual_mov_b32 v25, v9 :: v_dual_mov_b32 v55, v6
	v_mov_b32_e32 v77, v7
	s_delay_alu instid0(VALU_DEP_1) | instskip(NEXT) | instid1(VALU_DEP_1)
	v_pk_add_f32 v[10:11], v[76:77], v[10:11] neg_lo:[0,1] neg_hi:[0,1]
	v_pk_add_f32 v[10:11], v[24:25], v[10:11] neg_lo:[0,1] neg_hi:[0,1]
	s_delay_alu instid0(VALU_DEP_1) | instskip(NEXT) | instid1(VALU_DEP_1)
	v_add_f32_e32 v5, v5, v10
	v_add_f32_e32 v9, v5, v11
	s_delay_alu instid0(VALU_DEP_1) | instskip(SKIP_1) | instid1(VALU_DEP_2)
	v_pk_add_f32 v[24:25], v[6:7], v[8:9]
	v_pk_add_f32 v[10:11], v[6:7], v[8:9] neg_lo:[0,1] neg_hi:[0,1]
	v_mov_b32_e32 v11, v25
	s_delay_alu instid0(VALU_DEP_1) | instskip(SKIP_1) | instid1(VALU_DEP_1)
	v_pk_add_f32 v[76:77], v[54:55], v[10:11] neg_lo:[0,1] neg_hi:[0,1]
	v_pk_add_f32 v[10:11], v[54:55], v[10:11]
	v_dual_mov_b32 v10, v25 :: v_dual_mov_b32 v8, v11
	v_mov_b32_e32 v77, v11
	s_delay_alu instid0(VALU_DEP_2) | instskip(NEXT) | instid1(VALU_DEP_1)
	v_pk_add_f32 v[54:55], v[8:9], v[6:7] neg_lo:[0,1] neg_hi:[0,1]
	v_mov_b32_e32 v5, v54
	s_delay_alu instid0(VALU_DEP_1) | instskip(SKIP_2) | instid1(VALU_DEP_2)
	v_pk_add_f32 v[78:79], v[24:25], v[4:5] neg_lo:[0,1] neg_hi:[0,1]
	v_dual_mov_b32 v24, v7 :: v_dual_mov_b32 v25, v54
	v_mov_b32_e32 v78, v76
	v_pk_add_f32 v[10:11], v[10:11], v[24:25] neg_lo:[0,1] neg_hi:[0,1]
	v_dual_mov_b32 v24, v9 :: v_dual_mov_b32 v25, v6
	s_delay_alu instid0(VALU_DEP_1) | instskip(NEXT) | instid1(VALU_DEP_1)
	v_pk_add_f32 v[6:7], v[24:25], v[10:11] neg_lo:[0,1] neg_hi:[0,1]
	v_pk_add_f32 v[10:11], v[78:79], v[6:7]
	s_delay_alu instid0(VALU_DEP_1) | instskip(NEXT) | instid1(VALU_DEP_1)
	v_mov_b32_e32 v14, v11
	v_pk_add_f32 v[24:25], v[10:11], v[14:15]
	s_delay_alu instid0(VALU_DEP_1) | instskip(NEXT) | instid1(VALU_DEP_1)
	v_pk_add_f32 v[8:9], v[8:9], v[24:25]
	v_mov_b32_e32 v11, v8
	s_delay_alu instid0(VALU_DEP_1) | instskip(SKIP_1) | instid1(VALU_DEP_2)
	v_pk_add_f32 v[54:55], v[10:11], v[76:77] neg_lo:[0,1] neg_hi:[0,1]
	v_dual_mov_b32 v7, v24 :: v_dual_mov_b32 v77, v15
	v_sub_f32_e32 v5, v10, v54
	s_delay_alu instid0(VALU_DEP_2) | instskip(NEXT) | instid1(VALU_DEP_2)
	v_pk_add_f32 v[6:7], v[6:7], v[54:55] neg_lo:[0,1] neg_hi:[0,1]
	v_sub_f32_e32 v5, v76, v5
	s_delay_alu instid0(VALU_DEP_1) | instskip(NEXT) | instid1(VALU_DEP_1)
	v_add_f32_e32 v5, v6, v5
	v_add_f32_e32 v5, v5, v7
	s_delay_alu instid0(VALU_DEP_1) | instskip(NEXT) | instid1(VALU_DEP_1)
	v_add_f32_e32 v6, v8, v5
	v_sub_f32_e32 v7, v6, v8
	s_delay_alu instid0(VALU_DEP_1) | instskip(NEXT) | instid1(VALU_DEP_1)
	v_dual_sub_f32 v5, v5, v7 :: v_dual_mul_f32 v7, v80, v6
	v_fma_f32 v6, v80, v6, -v7
	v_cmp_class_f32_e64 vcc_lo, v7, 0x204
	s_delay_alu instid0(VALU_DEP_2) | instskip(NEXT) | instid1(VALU_DEP_1)
	v_fmac_f32_e32 v6, v80, v5
	v_add_f32_e32 v5, v7, v6
	s_delay_alu instid0(VALU_DEP_1) | instskip(NEXT) | instid1(VALU_DEP_1)
	v_sub_f32_e32 v8, v5, v7
	v_dual_sub_f32 v6, v6, v8 :: v_dual_cndmask_b32 v5, v5, v7
	s_delay_alu instid0(VALU_DEP_1) | instskip(NEXT) | instid1(VALU_DEP_2)
	v_cmp_neq_f32_e64 vcc_lo, 0x7f800000, |v5|
	v_cndmask_b32_e32 v6, 0, v6, vcc_lo
	v_cmp_eq_f32_e32 vcc_lo, 0x42b17218, v5
	s_delay_alu instid0(VALU_DEP_3) | instskip(NEXT) | instid1(VALU_DEP_1)
	v_cndmask_b32_e64 v7, 0, 0x37000000, vcc_lo
	v_dual_sub_f32 v5, v5, v7 :: v_dual_add_f32 v6, v7, v6
	s_delay_alu instid0(VALU_DEP_1) | instskip(SKIP_1) | instid1(VALU_DEP_2)
	v_mul_f32_e32 v7, 0x3fb8aa3b, v5
	v_cmp_ngt_f32_e32 vcc_lo, 0xc2ce8ed0, v5
	v_fma_f32 v8, 0x3fb8aa3b, v5, -v7
	v_rndne_f32_e32 v9, v7
	s_delay_alu instid0(VALU_DEP_2) | instskip(NEXT) | instid1(VALU_DEP_2)
	v_fmac_f32_e32 v8, 0x32a5705f, v5
	v_sub_f32_e32 v7, v7, v9
	s_delay_alu instid0(VALU_DEP_1) | instskip(SKIP_1) | instid1(VALU_DEP_2)
	v_add_f32_e32 v7, v7, v8
	v_cvt_i32_f32_e32 v8, v9
	v_exp_f32_e32 v7, v7
	v_nop
	s_delay_alu instid0(TRANS32_DEP_1) | instskip(NEXT) | instid1(VALU_DEP_1)
	v_ldexp_f32 v7, v7, v8
	v_cndmask_b32_e32 v7, 0, v7, vcc_lo
	v_cmp_nlt_f32_e32 vcc_lo, 0x42b17218, v5
	s_delay_alu instid0(VALU_DEP_2) | instskip(NEXT) | instid1(VALU_DEP_1)
	v_cndmask_b32_e32 v5, 0x7f800000, v7, vcc_lo
	v_fma_f32 v6, v5, v6, v5
	v_cmp_class_f32_e64 vcc_lo, v5, 0x204
	s_delay_alu instid0(VALU_DEP_2) | instskip(SKIP_1) | instid1(VALU_DEP_1)
	v_cndmask_b32_e32 v5, v6, v5, vcc_lo
	v_trunc_f32_e32 v6, v80
	v_cmp_eq_f32_e32 vcc_lo, v6, v80
	v_mul_f32_e32 v6, 0.5, v80
	s_delay_alu instid0(VALU_DEP_1) | instskip(NEXT) | instid1(VALU_DEP_1)
	v_trunc_f32_e32 v7, v6
	v_cmp_neq_f32_e64 s7, v7, v6
	s_and_b32 s7, vcc_lo, s7
	s_delay_alu instid0(SALU_CYCLE_1) | instskip(NEXT) | instid1(VALU_DEP_1)
	v_dual_cndmask_b32 v6, 1.0, v57, s7 :: v_dual_cndmask_b32 v7, 0, v57, s7
	v_bfi_b32 v5, 0x7fffffff, v5, v6
	s_delay_alu instid0(VALU_DEP_1) | instskip(SKIP_1) | instid1(VALU_DEP_2)
	v_cndmask_b32_e32 v6, 0x7fc00000, v5, vcc_lo
	v_cmp_eq_f32_e32 vcc_lo, 0, v57
	v_cndmask_b32_e64 v5, v5, v6, s12
	v_cndmask_b32_e64 v6, 0x7f800000, 0, vcc_lo
	v_cmp_class_f32_e64 s12, v57, 0x204
	s_delay_alu instid0(VALU_DEP_2) | instskip(SKIP_2) | instid1(VALU_DEP_2)
	v_bfi_b32 v6, 0x7fffffff, v6, v7
	s_or_b32 s12, vcc_lo, s12
	v_cmp_o_f32_e32 vcc_lo, v57, v57
	v_cndmask_b32_e64 v5, v5, v6, s12
	v_cmp_gt_f32_e64 s12, 0x48000000, |v108|
	s_delay_alu instid0(VALU_DEP_2) | instskip(SKIP_1) | instid1(VALU_DEP_1)
	v_cndmask_b32_e32 v54, 0x7fc00000, v5, vcc_lo
	v_cndmask_b32_e64 v5, v74, v69, s4
	v_xor_b32_e32 v5, v21, v5
	s_delay_alu instid0(VALU_DEP_1) | instskip(NEXT) | instid1(VALU_DEP_1)
	v_xor3_b32 v5, v5, v66, v31
	v_cndmask_b32_e64 v21, 0x7fc00000, v5, s8
	s_delay_alu instid0(VALU_DEP_1) | instskip(SKIP_3) | instid1(VALU_DEP_3)
	v_cmp_eq_f32_e32 vcc_lo, 1.0, v21
	v_frexp_mant_f32_e64 v5, |v21|
	v_cmp_gt_f32_e64 s7, 0, v21
	v_cndmask_b32_e64 v31, 0x40400000, 1.0, vcc_lo
	v_cmp_gt_f32_e32 vcc_lo, 0x3f2aaaab, v5
	v_cndmask_b32_e64 v6, 1.0, 2.0, vcc_lo
	s_delay_alu instid0(VALU_DEP_1) | instskip(NEXT) | instid1(VALU_DEP_1)
	v_mul_f32_e32 v5, v5, v6
	v_add_f32_e32 v6, 1.0, v5
	s_delay_alu instid0(VALU_DEP_1) | instskip(NEXT) | instid1(VALU_DEP_1)
	v_add_f32_e32 v7, -1.0, v6
	v_dual_sub_f32 v9, v5, v7 :: v_dual_add_f32 v7, -1.0, v5
	v_rcp_f32_e32 v14, v6
	v_nop
	s_delay_alu instid0(TRANS32_DEP_1) | instskip(NEXT) | instid1(VALU_DEP_1)
	v_mul_f32_e32 v5, v7, v14
	v_mul_f32_e32 v8, v6, v5
	s_delay_alu instid0(VALU_DEP_1) | instskip(NEXT) | instid1(VALU_DEP_1)
	v_fma_f32 v10, v5, v6, -v8
	v_fmac_f32_e32 v10, v5, v9
	s_delay_alu instid0(VALU_DEP_1) | instskip(NEXT) | instid1(VALU_DEP_1)
	v_add_f32_e32 v6, v8, v10
	v_dual_sub_f32 v9, v7, v6 :: v_dual_mov_b32 v11, v6
	s_delay_alu instid0(VALU_DEP_1) | instskip(NEXT) | instid1(VALU_DEP_1)
	v_pk_add_f32 v[24:25], v[6:7], v[8:9] neg_lo:[0,1] neg_hi:[0,1]
	v_pk_add_f32 v[6:7], v[24:25], v[10:11] neg_lo:[0,1] neg_hi:[0,1]
	s_delay_alu instid0(VALU_DEP_1) | instskip(NEXT) | instid1(VALU_DEP_1)
	v_add_f32_e32 v6, v6, v7
	v_add_f32_e32 v6, v9, v6
	s_delay_alu instid0(VALU_DEP_1) | instskip(NEXT) | instid1(VALU_DEP_1)
	v_mul_f32_e32 v7, v14, v6
	v_add_f32_e32 v6, v5, v7
	s_delay_alu instid0(VALU_DEP_1) | instskip(NEXT) | instid1(VALU_DEP_1)
	v_sub_f32_e32 v5, v6, v5
	v_dual_sub_f32 v14, v7, v5 :: v_dual_mul_f32 v5, v6, v6
	s_delay_alu instid0(VALU_DEP_1) | instskip(NEXT) | instid1(VALU_DEP_2)
	v_fma_f32 v7, v6, v6, -v5
	v_add_f32_e32 v8, v14, v14
	s_delay_alu instid0(VALU_DEP_1) | instskip(NEXT) | instid1(VALU_DEP_1)
	v_fmac_f32_e32 v7, v6, v8
	v_add_f32_e32 v8, v5, v7
	s_delay_alu instid0(VALU_DEP_1) | instskip(SKIP_1) | instid1(VALU_DEP_2)
	v_fmaak_f32 v9, s18, v8, 0x3e91f4c4
	v_sub_f32_e32 v5, v8, v5
	v_fmaak_f32 v9, v8, v9, 0x3ecccdef
	s_delay_alu instid0(VALU_DEP_2) | instskip(NEXT) | instid1(VALU_DEP_2)
	v_sub_f32_e32 v55, v7, v5
	v_mul_f32_e32 v5, v8, v9
	s_delay_alu instid0(VALU_DEP_1) | instskip(NEXT) | instid1(VALU_DEP_1)
	v_fma_f32 v46, v8, v9, -v5
	v_fmac_f32_e32 v46, v55, v9
	s_delay_alu instid0(VALU_DEP_1) | instskip(NEXT) | instid1(VALU_DEP_1)
	v_add_f32_e32 v11, v5, v46
	v_sub_f32_e32 v10, v11, v5
	s_delay_alu instid0(VALU_DEP_1) | instskip(SKIP_1) | instid1(VALU_DEP_1)
	v_pk_add_f32 v[24:25], v[46:47], v[10:11] neg_lo:[0,1] neg_hi:[0,1]
	v_pk_add_f32 v[46:47], v[10:11], v[48:49]
	v_mov_b32_e32 v25, v47
	s_delay_alu instid0(VALU_DEP_1) | instskip(NEXT) | instid1(VALU_DEP_1)
	v_pk_add_f32 v[24:25], v[24:25], v[52:53]
	v_dual_mov_b32 v5, v24 :: v_dual_sub_f32 v9, v11, v25
	v_mov_b32_e32 v7, v24
	s_delay_alu instid0(VALU_DEP_2) | instskip(NEXT) | instid1(VALU_DEP_2)
	v_pk_add_f32 v[24:25], v[4:5], v[8:9]
	v_pk_mul_f32 v[10:11], v[6:7], v[8:9]
	s_delay_alu instid0(VALU_DEP_1) | instskip(NEXT) | instid1(VALU_DEP_1)
	v_dual_mov_b32 v11, v25 :: v_dual_fma_f32 v46, v8, v6, -v10
	v_fmac_f32_e32 v46, v8, v14
	s_delay_alu instid0(VALU_DEP_1) | instskip(NEXT) | instid1(VALU_DEP_1)
	v_fmac_f32_e32 v46, v55, v6
	v_pk_add_f32 v[8:9], v[10:11], v[46:47]
	s_delay_alu instid0(VALU_DEP_1) | instskip(SKIP_2) | instid1(VALU_DEP_3)
	v_dual_sub_f32 v5, v8, v10 :: v_dual_sub_f32 v7, v47, v9
	v_mov_b32_e32 v10, v9
	v_ldexp_f32 v47, v6, 1
	v_dual_add_f32 v7, v25, v7 :: v_dual_sub_f32 v5, v46, v5
	s_delay_alu instid0(VALU_DEP_3) | instskip(NEXT) | instid1(VALU_DEP_1)
	v_pk_mul_f32 v[10:11], v[8:9], v[10:11]
	v_dual_mov_b32 v11, v47 :: v_dual_fma_f32 v24, v8, v9, -v10
	s_delay_alu instid0(VALU_DEP_1) | instskip(NEXT) | instid1(VALU_DEP_1)
	v_fmac_f32_e32 v24, v8, v7
	v_fmac_f32_e32 v24, v5, v9
	v_cvt_f64_f32_e64 v[8:9], |v21|
	s_delay_alu instid0(VALU_DEP_1) | instskip(NEXT) | instid1(VALU_DEP_3)
	v_frexp_exp_i32_f64_e32 v5, v[8:9]
	v_add_f32_e32 v9, v10, v24
	s_delay_alu instid0(VALU_DEP_1) | instskip(NEXT) | instid1(VALU_DEP_3)
	v_dual_mov_b32 v25, v9 :: v_dual_mov_b32 v48, v9
	v_subrev_co_ci_u32_e64 v5, null, 0, v5, vcc_lo
	s_delay_alu instid0(VALU_DEP_1) | instskip(NEXT) | instid1(VALU_DEP_1)
	v_cvt_f32_i32_e32 v5, v5
	v_mul_f32_e32 v8, 0x3f317218, v5
	s_delay_alu instid0(VALU_DEP_1) | instskip(NEXT) | instid1(VALU_DEP_1)
	v_fma_f32 v46, 0x3f317218, v5, -v8
	v_fmac_f32_e32 v46, 0xb102e308, v5
	v_ldexp_f32 v5, v14, 1
	s_delay_alu instid0(VALU_DEP_2) | instskip(NEXT) | instid1(VALU_DEP_1)
	v_pk_add_f32 v[6:7], v[8:9], v[46:47]
	v_dual_mov_b32 v49, v7 :: v_dual_mov_b32 v47, v6
	s_delay_alu instid0(VALU_DEP_1) | instskip(NEXT) | instid1(VALU_DEP_1)
	v_pk_add_f32 v[10:11], v[48:49], v[10:11] neg_lo:[0,1] neg_hi:[0,1]
	v_pk_add_f32 v[10:11], v[24:25], v[10:11] neg_lo:[0,1] neg_hi:[0,1]
	s_delay_alu instid0(VALU_DEP_1) | instskip(NEXT) | instid1(VALU_DEP_1)
	v_add_f32_e32 v5, v5, v10
	v_add_f32_e32 v9, v5, v11
	s_delay_alu instid0(VALU_DEP_1) | instskip(SKIP_1) | instid1(VALU_DEP_2)
	v_pk_add_f32 v[24:25], v[6:7], v[8:9]
	v_pk_add_f32 v[10:11], v[6:7], v[8:9] neg_lo:[0,1] neg_hi:[0,1]
	v_mov_b32_e32 v11, v25
	s_delay_alu instid0(VALU_DEP_1) | instskip(SKIP_1) | instid1(VALU_DEP_1)
	v_pk_add_f32 v[48:49], v[46:47], v[10:11] neg_lo:[0,1] neg_hi:[0,1]
	v_pk_add_f32 v[10:11], v[46:47], v[10:11]
	v_dual_mov_b32 v10, v25 :: v_dual_mov_b32 v8, v11
	v_mov_b32_e32 v49, v11
	s_delay_alu instid0(VALU_DEP_2) | instskip(NEXT) | instid1(VALU_DEP_1)
	v_pk_add_f32 v[46:47], v[8:9], v[6:7] neg_lo:[0,1] neg_hi:[0,1]
	v_mov_b32_e32 v5, v46
	s_delay_alu instid0(VALU_DEP_1) | instskip(SKIP_2) | instid1(VALU_DEP_2)
	v_pk_add_f32 v[52:53], v[24:25], v[4:5] neg_lo:[0,1] neg_hi:[0,1]
	v_dual_mov_b32 v24, v7 :: v_dual_mov_b32 v25, v46
	v_mov_b32_e32 v52, v48
	v_pk_add_f32 v[10:11], v[10:11], v[24:25] neg_lo:[0,1] neg_hi:[0,1]
	v_dual_mov_b32 v24, v9 :: v_dual_mov_b32 v25, v6
	s_delay_alu instid0(VALU_DEP_1) | instskip(NEXT) | instid1(VALU_DEP_1)
	v_pk_add_f32 v[6:7], v[24:25], v[10:11] neg_lo:[0,1] neg_hi:[0,1]
	v_pk_add_f32 v[10:11], v[52:53], v[6:7]
	s_delay_alu instid0(VALU_DEP_1) | instskip(NEXT) | instid1(VALU_DEP_1)
	v_mov_b32_e32 v14, v11
	v_pk_add_f32 v[24:25], v[10:11], v[14:15]
	s_delay_alu instid0(VALU_DEP_1) | instskip(SKIP_1) | instid1(VALU_DEP_2)
	v_pk_add_f32 v[8:9], v[8:9], v[24:25]
	v_dual_mov_b32 v7, v24 :: v_dual_mov_b32 v25, v15
	v_mov_b32_e32 v11, v8
	s_delay_alu instid0(VALU_DEP_1) | instskip(NEXT) | instid1(VALU_DEP_1)
	v_pk_add_f32 v[46:47], v[10:11], v[48:49] neg_lo:[0,1] neg_hi:[0,1]
	v_sub_f32_e32 v5, v10, v46
	s_delay_alu instid0(VALU_DEP_2) | instskip(NEXT) | instid1(VALU_DEP_2)
	v_pk_add_f32 v[6:7], v[6:7], v[46:47] neg_lo:[0,1] neg_hi:[0,1]
	v_sub_f32_e32 v5, v48, v5
	s_delay_alu instid0(VALU_DEP_1) | instskip(NEXT) | instid1(VALU_DEP_1)
	v_add_f32_e32 v5, v6, v5
	v_add_f32_e32 v5, v5, v7
	s_delay_alu instid0(VALU_DEP_1) | instskip(NEXT) | instid1(VALU_DEP_1)
	v_add_f32_e32 v6, v8, v5
	v_sub_f32_e32 v7, v6, v8
	s_delay_alu instid0(VALU_DEP_1) | instskip(NEXT) | instid1(VALU_DEP_1)
	v_dual_sub_f32 v5, v5, v7 :: v_dual_mul_f32 v7, v31, v6
	v_fma_f32 v6, v31, v6, -v7
	v_cmp_class_f32_e64 vcc_lo, v7, 0x204
	s_delay_alu instid0(VALU_DEP_2) | instskip(NEXT) | instid1(VALU_DEP_1)
	v_fmac_f32_e32 v6, v31, v5
	v_add_f32_e32 v5, v7, v6
	s_delay_alu instid0(VALU_DEP_1) | instskip(NEXT) | instid1(VALU_DEP_1)
	v_sub_f32_e32 v8, v5, v7
	v_dual_sub_f32 v6, v6, v8 :: v_dual_cndmask_b32 v5, v5, v7
	s_delay_alu instid0(VALU_DEP_1) | instskip(NEXT) | instid1(VALU_DEP_2)
	v_cmp_neq_f32_e64 vcc_lo, 0x7f800000, |v5|
	v_cndmask_b32_e32 v6, 0, v6, vcc_lo
	v_cmp_eq_f32_e32 vcc_lo, 0x42b17218, v5
	s_delay_alu instid0(VALU_DEP_3) | instskip(NEXT) | instid1(VALU_DEP_1)
	v_cndmask_b32_e64 v7, 0, 0x37000000, vcc_lo
	v_dual_sub_f32 v5, v5, v7 :: v_dual_add_f32 v6, v7, v6
	s_delay_alu instid0(VALU_DEP_1) | instskip(SKIP_1) | instid1(VALU_DEP_2)
	v_mul_f32_e32 v7, 0x3fb8aa3b, v5
	v_cmp_ngt_f32_e32 vcc_lo, 0xc2ce8ed0, v5
	v_fma_f32 v8, 0x3fb8aa3b, v5, -v7
	v_rndne_f32_e32 v9, v7
	s_delay_alu instid0(VALU_DEP_2) | instskip(NEXT) | instid1(VALU_DEP_2)
	v_fmac_f32_e32 v8, 0x32a5705f, v5
	v_sub_f32_e32 v7, v7, v9
	s_delay_alu instid0(VALU_DEP_1) | instskip(SKIP_2) | instid1(VALU_DEP_3)
	v_add_f32_e32 v7, v7, v8
	v_cvt_i32_f32_e32 v8, v9
	v_mov_b32_e32 v9, v50
	v_exp_f32_e32 v7, v7
	v_nop
	s_delay_alu instid0(TRANS32_DEP_1) | instskip(NEXT) | instid1(VALU_DEP_1)
	v_ldexp_f32 v7, v7, v8
	v_cndmask_b32_e32 v7, 0, v7, vcc_lo
	v_cmp_nlt_f32_e32 vcc_lo, 0x42b17218, v5
	s_delay_alu instid0(VALU_DEP_2) | instskip(NEXT) | instid1(VALU_DEP_1)
	v_cndmask_b32_e32 v5, 0x7f800000, v7, vcc_lo
	v_fma_f32 v6, v5, v6, v5
	v_cmp_class_f32_e64 vcc_lo, v5, 0x204
	s_delay_alu instid0(VALU_DEP_2) | instskip(SKIP_1) | instid1(VALU_DEP_1)
	v_cndmask_b32_e32 v5, v6, v5, vcc_lo
	v_trunc_f32_e32 v6, v31
	v_cmp_eq_f32_e32 vcc_lo, v6, v31
	v_mul_f32_e32 v6, 0.5, v31
	s_delay_alu instid0(VALU_DEP_1) | instskip(NEXT) | instid1(VALU_DEP_1)
	v_trunc_f32_e32 v7, v6
	v_cmp_neq_f32_e64 s4, v7, v6
	s_and_b32 s4, vcc_lo, s4
	s_delay_alu instid0(SALU_CYCLE_1) | instskip(NEXT) | instid1(VALU_DEP_1)
	v_dual_cndmask_b32 v6, 1.0, v21, s4 :: v_dual_cndmask_b32 v7, 0, v21, s4
	v_bfi_b32 v5, 0x7fffffff, v5, v6
	s_delay_alu instid0(VALU_DEP_1) | instskip(SKIP_1) | instid1(VALU_DEP_2)
	v_cndmask_b32_e32 v6, 0x7fc00000, v5, vcc_lo
	v_cmp_eq_f32_e32 vcc_lo, 0, v21
	v_cndmask_b32_e64 v5, v5, v6, s7
	v_cndmask_b32_e64 v6, 0x7f800000, 0, vcc_lo
	v_cmp_class_f32_e64 s7, v21, 0x204
	s_delay_alu instid0(VALU_DEP_2) | instskip(SKIP_2) | instid1(VALU_DEP_2)
	v_bfi_b32 v6, 0x7fffffff, v6, v7
	s_or_b32 s7, vcc_lo, s7
	v_cmp_o_f32_e32 vcc_lo, v21, v21
	v_dual_mov_b32 v21, v20 :: v_dual_cndmask_b32 v5, v5, v6, s7
	s_delay_alu instid0(VALU_DEP_1) | instskip(NEXT) | instid1(VALU_DEP_2)
	v_pk_mul_f32 v[56:57], v[20:21], v[56:57] op_sel_hi:[0,1]
	v_cndmask_b32_e32 v5, 0x7fc00000, v5, vcc_lo
	s_delay_alu instid0(VALU_DEP_1) | instskip(SKIP_1) | instid1(VALU_DEP_2)
	v_dual_add_f32 v7, v54, v5 :: v_dual_sub_f32 v6, v54, v5
	v_div_scale_f32 v5, null, v20, v20, v59
	v_pk_mul_f32 v[46:47], v[20:21], v[6:7] op_sel_hi:[0,1]
	v_cndmask_b32_e64 v7, 0x7fc00000, v102, s3
	s_delay_alu instid0(VALU_DEP_1) | instskip(NEXT) | instid1(VALU_DEP_1)
	v_dual_mov_b32 v6, v59 :: v_dual_mov_b32 v8, v7
	v_pk_mul_f32 v[48:49], v[8:9], v[58:59]
	v_rcp_f32_e32 v8, v5
	v_nop
	s_delay_alu instid0(TRANS32_DEP_1) | instskip(NEXT) | instid1(VALU_DEP_1)
	v_fma_f32 v9, -v5, v8, 1.0
	v_fmac_f32_e32 v8, v9, v8
	v_div_scale_f32 v9, vcc_lo, v59, v20, v59
	s_delay_alu instid0(VALU_DEP_1) | instskip(NEXT) | instid1(VALU_DEP_1)
	v_mul_f32_e32 v10, v9, v8
	v_fma_f32 v11, -v5, v10, v9
	s_delay_alu instid0(VALU_DEP_1) | instskip(NEXT) | instid1(VALU_DEP_1)
	v_fmac_f32_e32 v10, v11, v8
	v_fma_f32 v5, -v5, v10, v9
	s_delay_alu instid0(VALU_DEP_1) | instskip(SKIP_3) | instid1(VALU_DEP_4)
	v_div_fmas_f32 v5, v5, v8, v10
	v_pk_add_f32 v[8:9], v[6:7], v[50:51]
	v_pk_add_f32 v[6:7], v[6:7], v[50:51] neg_lo:[0,1] neg_hi:[0,1]
	v_mov_b32_e32 v10, v61
	v_div_fixup_f32 v87, v5, v20, v59
	s_delay_alu instid0(VALU_DEP_4) | instskip(NEXT) | instid1(VALU_DEP_1)
	v_dual_mov_b32 v7, v9 :: v_dual_cndmask_b32 v5, v90, v92, s2
	v_pk_mul_f32 v[50:51], v[20:21], v[6:7] op_sel_hi:[0,1]
	s_delay_alu instid0(VALU_DEP_2) | instskip(NEXT) | instid1(VALU_DEP_1)
	v_mul_f32_e32 v7, v5, v5
	v_fmaak_f32 v8, s30, v7, 0x3c0881c4
	s_delay_alu instid0(VALU_DEP_1) | instskip(NEXT) | instid1(VALU_DEP_1)
	v_fmaak_f32 v8, v7, v8, 0xbe2aaa9d
	v_mul_f32_e32 v8, v7, v8
	s_delay_alu instid0(VALU_DEP_1) | instskip(SKIP_1) | instid1(VALU_DEP_1)
	v_dual_cndmask_b32 v6, v91, v93, s2 :: v_dual_fmac_f32 v5, v5, v8
	v_fmaak_f32 v8, s34, v7, 0xbab64f3b
	v_fmaak_f32 v8, v7, v8, 0x3d2aabf7
	s_delay_alu instid0(VALU_DEP_1) | instskip(NEXT) | instid1(VALU_DEP_1)
	v_fmaak_f32 v8, v7, v8, 0xbf000004
	v_fma_f32 v7, v7, v8, 1.0
	v_dual_lshlrev_b32 v6, 30, v6 :: v_dual_bitop2_b32 v8, 1, v6 bitop3:0x40
	s_delay_alu instid0(VALU_DEP_1) | instskip(NEXT) | instid1(VALU_DEP_2)
	v_cmp_eq_u32_e32 vcc_lo, 0, v8
	v_and_b32_e32 v6, 0x80000000, v6
	s_delay_alu instid0(VALU_DEP_4) | instskip(NEXT) | instid1(VALU_DEP_1)
	v_dual_cndmask_b32 v8, v7, v5, vcc_lo :: v_dual_cndmask_b32 v5, -v5, v7, vcc_lo
	v_xor3_b32 v8, v67, v8, v68
	s_delay_alu instid0(VALU_DEP_2) | instskip(NEXT) | instid1(VALU_DEP_2)
	v_xor_b32_e32 v5, v6, v5
	v_xor_b32_e32 v7, v6, v8
	s_delay_alu instid0(VALU_DEP_2) | instskip(NEXT) | instid1(VALU_DEP_2)
	v_cndmask_b32_e64 v6, 0x7fc00000, v5, s5
	v_cndmask_b32_e64 v7, 0x7fc00000, v7, s5
	s_delay_alu instid0(VALU_DEP_1) | instskip(SKIP_1) | instid1(VALU_DEP_1)
	v_pk_mul_f32 v[52:53], v[0:1], v[6:7] op_sel_hi:[0,1]
	v_dual_cndmask_b32 v6, v95, v97, s6 :: v_dual_cndmask_b32 v5, v94, v96, s6
	v_mul_f32_e32 v7, v5, v5
	s_delay_alu instid0(VALU_DEP_1) | instskip(NEXT) | instid1(VALU_DEP_1)
	v_fmaak_f32 v8, s30, v7, 0x3c0881c4
	v_fmaak_f32 v8, v7, v8, 0xbe2aaa9d
	s_delay_alu instid0(VALU_DEP_1) | instskip(NEXT) | instid1(VALU_DEP_1)
	v_mul_f32_e32 v8, v7, v8
	v_dual_fmac_f32 v5, v5, v8 :: v_dual_fmaak_f32 v8, s34, v7, 0xbab64f3b
	s_delay_alu instid0(VALU_DEP_1) | instskip(NEXT) | instid1(VALU_DEP_1)
	v_fmaak_f32 v8, v7, v8, 0x3d2aabf7
	v_fmaak_f32 v8, v7, v8, 0xbf000004
	s_delay_alu instid0(VALU_DEP_1) | instskip(SKIP_1) | instid1(VALU_DEP_1)
	v_fma_f32 v7, v7, v8, 1.0
	v_dual_lshlrev_b32 v6, 30, v6 :: v_dual_bitop2_b32 v8, 1, v6 bitop3:0x40
	v_cmp_eq_u32_e32 vcc_lo, 0, v8
	s_delay_alu instid0(VALU_DEP_2) | instskip(NEXT) | instid1(VALU_DEP_4)
	v_and_b32_e32 v6, 0x80000000, v6
	v_cndmask_b32_e32 v8, v7, v5, vcc_lo
	s_delay_alu instid0(VALU_DEP_1) | instskip(NEXT) | instid1(VALU_DEP_1)
	v_xor3_b32 v8, v75, v8, v89
	v_dual_cndmask_b32 v5, -v5, v7, vcc_lo :: v_dual_bitop2_b32 v7, v6, v8 bitop3:0x14
	s_delay_alu instid0(VALU_DEP_1) | instskip(NEXT) | instid1(VALU_DEP_2)
	v_xor_b32_e32 v5, v6, v5
	v_cndmask_b32_e64 v7, 0x7fc00000, v7, s9
	s_delay_alu instid0(VALU_DEP_2) | instskip(SKIP_1) | instid1(VALU_DEP_2)
	v_cndmask_b32_e64 v6, 0x7fc00000, v5, s9
	v_cndmask_b32_e64 v5, v60, v63, s0
	v_pk_mul_f32 v[54:55], v[20:21], v[6:7] op_sel_hi:[0,1] neg_lo:[1,0]
	v_cndmask_b32_e64 v7, v33, v62, s0
	v_pk_mul_f32 v[62:63], v[64:65], v[64:65]
	s_delay_alu instid0(VALU_DEP_2) | instskip(NEXT) | instid1(VALU_DEP_1)
	v_dual_mul_f32 v8, v7, v7 :: v_dual_mov_b32 v11, v7
	v_fmaak_f32 v6, s30, v8, 0x3c0881c4
	s_delay_alu instid0(VALU_DEP_1) | instskip(NEXT) | instid1(VALU_DEP_1)
	v_fmaak_f32 v6, v8, v6, 0xbe2aaa9d
	v_dual_mul_f32 v9, v8, v6 :: v_dual_fmaak_f32 v6, s34, v8, 0xbab64f3b
	s_delay_alu instid0(VALU_DEP_1) | instskip(NEXT) | instid1(VALU_DEP_1)
	v_fmaak_f32 v6, v8, v6, 0x3d2aabf7
	v_fmaak_f32 v6, v8, v6, 0xbf000004
	s_delay_alu instid0(VALU_DEP_1) | instskip(SKIP_2) | instid1(VALU_DEP_2)
	v_pk_fma_f32 v[6:7], v[6:7], v[8:9], v[10:11]
	v_dual_lshlrev_b32 v5, 30, v5 :: v_dual_bitop2_b32 v8, 1, v5 bitop3:0x40
	v_mov_b32_e32 v11, v15
	v_cmp_eq_u32_e32 vcc_lo, 0, v8
	s_delay_alu instid0(VALU_DEP_3) | instskip(SKIP_1) | instid1(VALU_DEP_2)
	v_and_b32_e32 v5, 0x80000000, v5
	v_cndmask_b32_e32 v8, v6, v7, vcc_lo
	v_bitop3_b32 v3, v5, v22, v3 bitop3:0x36
	v_dual_cndmask_b32 v6, -v7, v6, vcc_lo :: v_dual_mov_b32 v22, v20
	s_delay_alu instid0(VALU_DEP_1) | instskip(NEXT) | instid1(VALU_DEP_3)
	v_xor_b32_e32 v5, v5, v6
	v_xor_b32_e32 v3, v3, v8
	s_delay_alu instid0(VALU_DEP_2) | instskip(NEXT) | instid1(VALU_DEP_2)
	v_cndmask_b32_e64 v6, 0x7fc00000, v5, s1
	v_cndmask_b32_e64 v7, 0x7fc00000, v3, s1
	s_delay_alu instid0(VALU_DEP_1) | instskip(SKIP_1) | instid1(VALU_DEP_2)
	v_dual_mov_b32 v9, v6 :: v_dual_mov_b32 v8, v7
	v_pk_mul_f32 v[66:67], v[18:19], v[6:7] op_sel:[1,0]
	v_pk_mul_f32 v[68:69], v[18:19], v[8:9] op_sel_hi:[0,1]
	v_mov_b32_e32 v9, v15
	s_delay_alu instid0(VALU_DEP_2) | instskip(SKIP_1) | instid1(VALU_DEP_1)
	v_pk_fma_f32 v[60:61], v[18:19], v[6:7], v[68:69] op_sel:[1,0,0] neg_lo:[0,0,1] neg_hi:[0,0,1]
	v_dual_mov_b32 v6, v63 :: v_dual_mov_b32 v7, v45
	v_pk_add_f32 v[74:75], v[6:7], v[22:23]
	v_mov_b64_e32 v[6:7], 0x40490fdb40000000
	s_delay_alu instid0(VALU_DEP_2) | instskip(SKIP_2) | instid1(VALU_DEP_4)
	v_bfi_b32 v5, 0x7fffffff, 0, v75
	v_cmp_class_f32_e64 s3, v75, 0x1f8
	v_and_b32_e32 v94, 0x80000000, v75
	v_pk_mul_f32 v[6:7], v[2:3], v[6:7] op_sel_hi:[0,1]
	v_and_b32_e32 v105, 0x80000000, v74
	s_delay_alu instid0(VALU_DEP_2) | instskip(SKIP_1) | instid1(VALU_DEP_2)
	v_pk_mul_f32 v[2:3], v[2:3], v[6:7] op_sel_hi:[0,1]
	v_cvt_f64_f32_e64 v[6:7], |v75|
	v_cmp_eq_f32_e64 s0, |v75|, |v3|
	v_fma_f32 v96, 0.5, v3, v23
	v_cmp_o_f32_e64 s2, v3, v3
	v_fmac_f32_e32 v23, -0.5, v3
	v_cmp_gt_f32_e64 s13, |v75|, |v3|
	v_cndmask_b32_e64 v60, v75, v5, s0
	v_and_b32_e32 v97, 0x7fffffff, v96
	s_and_b32 s2, s2, s3
	v_cmp_eq_f32_e64 s1, 0, v3
	v_mul_f32_e32 v95, 0.5, v3
	v_cmp_eq_f32_e64 vcc_lo, |v74|, |v2|
	v_and_or_b32 v14, v97, s31, 0x800000
	v_cmp_gt_f32_e64 s14, |v74|, |v2|
	v_cmp_gt_f32_e64 s9, 0x48000000, |v23|
	v_frexp_exp_i32_f64_e32 v5, v[6:7]
	v_frexp_mant_f32_e64 v6, |v75|
	s_delay_alu instid0(VALU_DEP_1) | instskip(SKIP_1) | instid1(VALU_DEP_1)
	v_ldexp_f32 v89, v6, 12
	v_cvt_f64_f32_e64 v[6:7], |v3|
	v_frexp_exp_i32_f64_e32 v6, v[6:7]
	v_frexp_mant_f32_e64 v7, |v3|
	s_delay_alu instid0(VALU_DEP_1) | instskip(NEXT) | instid1(VALU_DEP_1)
	v_ldexp_f32 v91, v7, 1
	v_rcp_f32_e32 v93, v91
	s_delay_alu instid0(VALU_DEP_3) | instskip(SKIP_1) | instid1(VALU_DEP_2)
	v_dual_sub_nc_u32 v92, v5, v6 :: v_dual_lshrrev_b32 v5, 23, v97
	v_add_nc_u32_e32 v90, -1, v6
	v_cmp_lt_i32_e64 s0, 12, v92
	s_delay_alu instid0(VALU_DEP_3) | instskip(NEXT) | instid1(VALU_DEP_1)
	v_add_nc_u32_e32 v5, 0xffffff88, v5
	v_cmp_lt_u32_e64 s3, 63, v5
	s_delay_alu instid0(VALU_DEP_1) | instskip(NEXT) | instid1(VALU_DEP_1)
	v_cndmask_b32_e64 v6, 0, 0xffffffc0, s3
	v_add_nc_u32_e32 v5, v6, v5
	s_delay_alu instid0(VALU_DEP_1) | instskip(NEXT) | instid1(VALU_DEP_1)
	v_cmp_lt_u32_e64 s4, 31, v5
	v_cndmask_b32_e64 v6, 0, 0xffffffe0, s4
	s_delay_alu instid0(VALU_DEP_1) | instskip(NEXT) | instid1(VALU_DEP_1)
	v_add_nc_u32_e32 v5, v6, v5
	v_cmp_lt_u32_e64 s5, 31, v5
	s_delay_alu instid0(VALU_DEP_1) | instskip(NEXT) | instid1(VALU_DEP_1)
	v_cndmask_b32_e64 v6, 0, 0xffffffe0, s5
	v_add_nc_u32_e32 v5, v6, v5
	v_mul_u64_e32 v[6:7], s[28:29], v[14:15]
	v_cmp_gt_f32_e64 s8, 0x48000000, |v96|
	s_delay_alu instid0(VALU_DEP_3) | instskip(NEXT) | instid1(VALU_DEP_3)
	v_cmp_eq_u32_e64 s6, 0, v5
	v_dual_mov_b32 v8, v7 :: v_dual_sub_nc_u32 v5, 32, v5
	s_delay_alu instid0(VALU_DEP_1) | instskip(NEXT) | instid1(VALU_DEP_1)
	v_mad_nc_u64_u32 v[8:9], 0x3c439041, v14, v[8:9]
	v_mov_b32_e32 v10, v9
	s_delay_alu instid0(VALU_DEP_1) | instskip(NEXT) | instid1(VALU_DEP_1)
	v_mad_nc_u64_u32 v[10:11], 0xdb629599, v14, v[10:11]
	v_mov_b32_e32 v24, v11
	s_delay_alu instid0(VALU_DEP_1) | instskip(NEXT) | instid1(VALU_DEP_1)
	v_mad_nc_u64_u32 v[24:25], 0xf534ddc0, v14, v[24:25]
	v_dual_mov_b32 v79, v15 :: v_dual_mov_b32 v76, v25
	s_delay_alu instid0(VALU_DEP_1) | instskip(NEXT) | instid1(VALU_DEP_1)
	v_mad_nc_u64_u32 v[76:77], 0xfc2757d1, v14, v[76:77]
	v_dual_mov_b32 v78, v77 :: v_dual_mov_b32 v77, v15
	s_delay_alu instid0(VALU_DEP_1) | instskip(NEXT) | instid1(VALU_DEP_1)
	v_mad_nc_u64_u32 v[78:79], 0x4e441529, v14, v[78:79]
	v_dual_mov_b32 v98, v79 :: v_dual_cndmask_b32 v7, v78, v24, s3
	v_mov_b32_e32 v79, v15
	s_delay_alu instid0(VALU_DEP_2) | instskip(NEXT) | instid1(VALU_DEP_1)
	v_mad_nc_u64_u32 v[98:99], 0xa2f9836e, v14, v[98:99]
	v_dual_cndmask_b32 v9, v98, v76, s3 :: v_dual_cndmask_b32 v14, v99, v78, s3
	v_and_b32_e32 v98, 0x7fffffff, v23
	s_delay_alu instid0(VALU_DEP_2) | instskip(SKIP_1) | instid1(VALU_DEP_2)
	v_dual_cndmask_b32 v11, v9, v7, s4 :: v_dual_cndmask_b32 v9, v14, v9, s4
	v_cndmask_b32_e64 v14, v76, v10, s3
	v_dual_lshrrev_b32 v3, 23, v98 :: v_dual_cndmask_b32 v9, v9, v11, s5
	s_delay_alu instid0(VALU_DEP_2) | instskip(NEXT) | instid1(VALU_DEP_1)
	v_dual_cndmask_b32 v7, v7, v14, s4 :: v_dual_cndmask_b32 v8, v24, v8, s3
	v_cndmask_b32_e64 v11, v11, v7, s5
	s_delay_alu instid0(VALU_DEP_1) | instskip(NEXT) | instid1(VALU_DEP_1)
	v_alignbit_b32 v22, v9, v11, v5
	v_cndmask_b32_e64 v9, v22, v9, s6
	s_delay_alu instid0(VALU_DEP_1) | instskip(NEXT) | instid1(VALU_DEP_1)
	v_dual_cndmask_b32 v14, v14, v8, s4 :: v_dual_lshrrev_b32 v24, 29, v9
	v_cndmask_b32_e64 v7, v7, v14, s5
	v_bfe_u32 v25, v9, 29, 1
	v_cndmask_b32_e64 v6, v10, v6, s3
	v_cmp_class_f32_e64 s3, v96, 0x1f8
	s_delay_alu instid0(VALU_DEP_4) | instskip(NEXT) | instid1(VALU_DEP_3)
	v_alignbit_b32 v22, v11, v7, v5
	v_dual_sub_nc_u32 v31, 0, v25 :: v_dual_cndmask_b32 v6, v8, v6, s4
	s_delay_alu instid0(VALU_DEP_2) | instskip(NEXT) | instid1(VALU_DEP_2)
	v_cndmask_b32_e64 v11, v22, v11, s6
	v_cndmask_b32_e64 v6, v14, v6, s5
	v_and_or_b32 v14, v98, s31, 0x800000
	s_delay_alu instid0(VALU_DEP_3) | instskip(NEXT) | instid1(VALU_DEP_3)
	v_alignbit_b32 v22, v9, v11, 30
	v_alignbit_b32 v5, v7, v6, v5
	s_delay_alu instid0(VALU_DEP_2) | instskip(NEXT) | instid1(VALU_DEP_2)
	v_xor_b32_e32 v22, v22, v31
	v_cndmask_b32_e64 v5, v5, v7, s6
	s_delay_alu instid0(VALU_DEP_2) | instskip(NEXT) | instid1(VALU_DEP_2)
	v_clz_i32_u32_e32 v8, v22
	v_alignbit_b32 v7, v11, v5, 30
	s_delay_alu instid0(VALU_DEP_2) | instskip(NEXT) | instid1(VALU_DEP_2)
	v_min_u32_e32 v8, 32, v8
	v_xor_b32_e32 v7, v7, v31
	v_alignbit_b32 v5, v5, v6, 30
	s_delay_alu instid0(VALU_DEP_1) | instskip(NEXT) | instid1(VALU_DEP_1)
	v_dual_sub_nc_u32 v10, 31, v8 :: v_dual_bitop2_b32 v5, v5, v31 bitop3:0x14
	v_alignbit_b32 v11, v22, v7, v10
	s_delay_alu instid0(VALU_DEP_2) | instskip(NEXT) | instid1(VALU_DEP_1)
	v_alignbit_b32 v5, v7, v5, v10
	v_alignbit_b32 v6, v11, v5, 9
	s_delay_alu instid0(VALU_DEP_1) | instskip(NEXT) | instid1(VALU_DEP_1)
	v_clz_i32_u32_e32 v7, v6
	v_min_u32_e32 v7, 32, v7
	s_delay_alu instid0(VALU_DEP_1) | instskip(SKIP_1) | instid1(VALU_DEP_2)
	v_not_b32_e32 v10, v7
	v_add_lshl_u32 v7, v7, v8, 23
	v_alignbit_b32 v5, v6, v5, v10
	s_delay_alu instid0(VALU_DEP_1) | instskip(NEXT) | instid1(VALU_DEP_1)
	v_dual_lshlrev_b32 v6, 31, v24 :: v_dual_lshrrev_b32 v5, 9, v5
	v_or_b32_e32 v10, 0x33000000, v6
	s_delay_alu instid0(VALU_DEP_1) | instskip(NEXT) | instid1(VALU_DEP_1)
	v_dual_sub_nc_u32 v7, v10, v7 :: v_dual_bitop2_b32 v6, 0.5, v6 bitop3:0x54
	v_dual_lshrrev_b32 v7, 9, v11 :: v_dual_bitop2_b32 v5, v7, v5 bitop3:0x54
	v_dual_mov_b32 v11, v15 :: v_dual_lshlrev_b32 v8, 23, v8
	s_delay_alu instid0(VALU_DEP_1) | instskip(NEXT) | instid1(VALU_DEP_1)
	v_sub_nc_u32_e32 v6, v6, v8
	v_or_b32_e32 v6, v7, v6
	s_delay_alu instid0(VALU_DEP_1) | instskip(NEXT) | instid1(VALU_DEP_1)
	v_mul_f32_e32 v7, 0x3fc90fda, v6
	v_fma_f32 v8, 0x3fc90fda, v6, -v7
	s_delay_alu instid0(VALU_DEP_1) | instskip(NEXT) | instid1(VALU_DEP_1)
	v_fmac_f32_e32 v8, 0x33a22168, v6
	v_fmac_f32_e32 v8, 0x3fc90fda, v5
	v_dual_lshrrev_b32 v5, 30, v9 :: v_dual_mov_b32 v9, v15
	s_delay_alu instid0(VALU_DEP_1) | instskip(SKIP_3) | instid1(VALU_DEP_2)
	v_dual_add_f32 v22, v7, v8 :: v_dual_add_nc_u32 v33, v25, v5
	v_mul_u64_e32 v[6:7], s[28:29], v[14:15]
	v_mul_f32_e64 v5, 0x3f22f983, |v96|
	v_mov_b32_e32 v25, v15
	v_rndne_f32_e32 v5, v5
	s_delay_alu instid0(VALU_DEP_1) | instskip(SKIP_1) | instid1(VALU_DEP_2)
	v_fma_f32 v45, 0xbfc90fda, v5, |v96|
	v_cvt_i32_f32_e32 v67, v5
	v_dual_fmac_f32 v45, 0xb3a22168, v5 :: v_dual_mov_b32 v8, v7
	s_delay_alu instid0(VALU_DEP_1) | instskip(NEXT) | instid1(VALU_DEP_1)
	v_mad_nc_u64_u32 v[8:9], 0x3c439041, v14, v[8:9]
	v_dual_fmac_f32 v45, 0xa7c234c4, v5 :: v_dual_mov_b32 v10, v9
	s_delay_alu instid0(VALU_DEP_1) | instskip(NEXT) | instid1(VALU_DEP_1)
	v_mad_nc_u64_u32 v[10:11], 0xdb629599, v14, v[10:11]
	v_dual_mov_b32 v24, v11 :: v_dual_add_nc_u32 v3, 0xffffff88, v3
	s_delay_alu instid0(VALU_DEP_1) | instskip(NEXT) | instid1(VALU_DEP_2)
	v_cmp_lt_u32_e64 s4, 63, v3
	v_mad_nc_u64_u32 v[24:25], 0xf534ddc0, v14, v[24:25]
	s_delay_alu instid0(VALU_DEP_2) | instskip(NEXT) | instid1(VALU_DEP_1)
	v_cndmask_b32_e64 v5, 0, 0xffffffc0, s4
	v_add_nc_u32_e32 v3, v5, v3
	s_delay_alu instid0(VALU_DEP_1) | instskip(NEXT) | instid1(VALU_DEP_4)
	v_cmp_lt_u32_e64 s5, 31, v3
	v_dual_mov_b32 v76, v25 :: v_dual_cndmask_b32 v8, v24, v8, s4
	s_delay_alu instid0(VALU_DEP_2) | instskip(NEXT) | instid1(VALU_DEP_2)
	v_cndmask_b32_e64 v5, 0, 0xffffffe0, s5
	v_mad_nc_u64_u32 v[76:77], 0xfc2757d1, v14, v[76:77]
	s_delay_alu instid0(VALU_DEP_2) | instskip(NEXT) | instid1(VALU_DEP_1)
	v_add_nc_u32_e32 v3, v5, v3
	v_cmp_lt_u32_e64 s6, 31, v3
	s_delay_alu instid0(VALU_DEP_3) | instskip(NEXT) | instid1(VALU_DEP_2)
	v_mov_b32_e32 v78, v77
	v_cndmask_b32_e64 v5, 0, 0xffffffe0, s6
	s_delay_alu instid0(VALU_DEP_2) | instskip(NEXT) | instid1(VALU_DEP_2)
	v_mad_nc_u64_u32 v[78:79], 0x4e441529, v14, v[78:79]
	v_add_nc_u32_e32 v3, v5, v3
	s_delay_alu instid0(VALU_DEP_1) | instskip(NEXT) | instid1(VALU_DEP_3)
	v_cmp_eq_u32_e64 s7, 0, v3
	v_dual_sub_nc_u32 v3, 32, v3 :: v_dual_cndmask_b32 v5, v78, v24, s4
	s_delay_alu instid0(VALU_DEP_4) | instskip(NEXT) | instid1(VALU_DEP_1)
	v_dual_mov_b32 v100, v79 :: v_dual_mov_b32 v79, v15
	v_mad_nc_u64_u32 v[100:101], 0xa2f9836e, v14, v[100:101]
	s_delay_alu instid0(VALU_DEP_1) | instskip(NEXT) | instid1(VALU_DEP_1)
	v_dual_cndmask_b32 v7, v100, v76, s4 :: v_dual_cndmask_b32 v11, v101, v78, s4
	v_cndmask_b32_e64 v9, v7, v5, s5
	s_delay_alu instid0(VALU_DEP_2) | instskip(NEXT) | instid1(VALU_DEP_1)
	v_dual_cndmask_b32 v7, v11, v7, s5 :: v_dual_cndmask_b32 v11, v76, v10, s4
	v_dual_cndmask_b32 v7, v7, v9, s6 :: v_dual_cndmask_b32 v5, v5, v11, s5
	s_delay_alu instid0(VALU_DEP_1) | instskip(NEXT) | instid1(VALU_DEP_1)
	v_dual_cndmask_b32 v11, v11, v8, s5 :: v_dual_cndmask_b32 v9, v9, v5, s6
	v_cndmask_b32_e64 v5, v5, v11, s6
	s_delay_alu instid0(VALU_DEP_2) | instskip(NEXT) | instid1(VALU_DEP_1)
	v_alignbit_b32 v14, v7, v9, v3
	v_cndmask_b32_e64 v7, v14, v7, s7
	s_delay_alu instid0(VALU_DEP_3) | instskip(NEXT) | instid1(VALU_DEP_2)
	v_alignbit_b32 v14, v9, v5, v3
	v_bfe_u32 v25, v7, 29, 1
	s_delay_alu instid0(VALU_DEP_2) | instskip(SKIP_2) | instid1(VALU_DEP_4)
	v_dual_cndmask_b32 v9, v14, v9, s7 :: v_dual_lshrrev_b32 v24, 29, v7
	v_cndmask_b32_e64 v6, v10, v6, s4
	v_cmp_class_f32_e64 s4, v23, 0x1f8
	v_sub_nc_u32_e32 v31, 0, v25
	s_delay_alu instid0(VALU_DEP_4) | instskip(NEXT) | instid1(VALU_DEP_1)
	v_alignbit_b32 v14, v7, v9, 30
	v_dual_cndmask_b32 v6, v8, v6, s5 :: v_dual_bitop2_b32 v14, v14, v31 bitop3:0x14
	s_delay_alu instid0(VALU_DEP_1) | instskip(SKIP_1) | instid1(VALU_DEP_3)
	v_cndmask_b32_e64 v6, v11, v6, s6
	v_cmp_eq_f32_e64 s6, 0, v2
	v_clz_i32_u32_e32 v8, v14
	s_delay_alu instid0(VALU_DEP_3) | instskip(NEXT) | instid1(VALU_DEP_2)
	v_alignbit_b32 v3, v5, v6, v3
	v_min_u32_e32 v8, 32, v8
	s_delay_alu instid0(VALU_DEP_2) | instskip(SKIP_1) | instid1(VALU_DEP_2)
	v_cndmask_b32_e64 v3, v3, v5, s7
	v_cmp_class_f32_e64 s7, v74, 0x1f8
	v_alignbit_b32 v5, v9, v3, 30
	s_delay_alu instid0(VALU_DEP_1) | instskip(SKIP_1) | instid1(VALU_DEP_1)
	v_xor_b32_e32 v5, v5, v31
	v_alignbit_b32 v3, v3, v6, 30
	v_dual_sub_nc_u32 v9, 31, v8 :: v_dual_bitop2_b32 v3, v3, v31 bitop3:0x14
	s_delay_alu instid0(VALU_DEP_1) | instskip(NEXT) | instid1(VALU_DEP_2)
	v_alignbit_b32 v10, v14, v5, v9
	v_alignbit_b32 v3, v5, v3, v9
	s_delay_alu instid0(VALU_DEP_1) | instskip(NEXT) | instid1(VALU_DEP_1)
	v_alignbit_b32 v5, v10, v3, 9
	v_clz_i32_u32_e32 v6, v5
	s_delay_alu instid0(VALU_DEP_1) | instskip(NEXT) | instid1(VALU_DEP_1)
	v_min_u32_e32 v6, 32, v6
	v_not_b32_e32 v9, v6
	v_add_lshl_u32 v6, v6, v8, 23
	s_delay_alu instid0(VALU_DEP_2) | instskip(NEXT) | instid1(VALU_DEP_1)
	v_alignbit_b32 v3, v5, v3, v9
	v_dual_lshlrev_b32 v5, 31, v24 :: v_dual_lshrrev_b32 v3, 9, v3
	s_delay_alu instid0(VALU_DEP_1) | instskip(NEXT) | instid1(VALU_DEP_1)
	v_or_b32_e32 v9, 0x33000000, v5
	v_dual_sub_nc_u32 v6, v9, v6 :: v_dual_bitop2_b32 v5, 0.5, v5 bitop3:0x54
	s_delay_alu instid0(VALU_DEP_1) | instskip(SKIP_1) | instid1(VALU_DEP_1)
	v_dual_lshrrev_b32 v6, 9, v10 :: v_dual_bitop2_b32 v3, v6, v3 bitop3:0x54
	v_dual_lshlrev_b32 v8, 23, v8 :: v_dual_lshrrev_b32 v10, 29, v122
	v_sub_nc_u32_e32 v5, v5, v8
	s_delay_alu instid0(VALU_DEP_1) | instskip(NEXT) | instid1(VALU_DEP_1)
	v_or_b32_e32 v5, v6, v5
	v_mul_f32_e32 v6, 0x3fc90fda, v5
	s_delay_alu instid0(VALU_DEP_1) | instskip(NEXT) | instid1(VALU_DEP_1)
	v_fma_f32 v8, 0x3fc90fda, v5, -v6
	v_fmac_f32_e32 v8, 0x33a22168, v5
	v_frexp_mant_f32_e64 v5, |v74|
	s_delay_alu instid0(VALU_DEP_2) | instskip(SKIP_1) | instid1(VALU_DEP_3)
	v_fmac_f32_e32 v8, 0x3fc90fda, v3
	v_lshrrev_b32_e32 v3, 30, v7
	v_ldexp_f32 v100, v5, 12
	s_delay_alu instid0(VALU_DEP_2) | instskip(SKIP_1) | instid1(VALU_DEP_1)
	v_add_nc_u32_e32 v75, v25, v3
	v_mul_f32_e64 v3, 0x3f22f983, |v23|
	v_rndne_f32_e32 v3, v3
	s_delay_alu instid0(VALU_DEP_1) | instskip(SKIP_3) | instid1(VALU_DEP_4)
	v_fma_f32 v110, 0xbfc90fda, v3, |v23|
	v_add_f32_e32 v69, v6, v8
	v_cvt_f64_f32_e64 v[6:7], |v74|
	v_cvt_i32_f32_e32 v111, v3
	v_fmac_f32_e32 v110, 0xb3a22168, v3
	s_delay_alu instid0(VALU_DEP_1) | instskip(SKIP_1) | instid1(VALU_DEP_1)
	v_fmac_f32_e32 v110, 0xa7c234c4, v3
	v_bfi_b32 v3, 0x7fffffff, 0, v74
	v_cndmask_b32_e32 v99, v74, v3, vcc_lo
	v_cmp_o_f32_e32 vcc_lo, v2, v2
	s_delay_alu instid0(VALU_DEP_4) | instskip(SKIP_4) | instid1(VALU_DEP_1)
	v_cndmask_b32_e64 v110, v69, v110, s9
	s_and_b32 s7, vcc_lo, s7
	v_cmp_gt_f32_e64 vcc_lo, 0x48000000, |v107|
	v_frexp_exp_i32_f64_e32 v3, v[6:7]
	v_cvt_f64_f32_e64 v[6:7], |v2|
	v_frexp_exp_i32_f64_e32 v5, v[6:7]
	v_frexp_mant_f32_e64 v6, |v2|
	v_sub_f32_e32 v2, 1.0, v63
	s_delay_alu instid0(VALU_DEP_2) | instskip(NEXT) | instid1(VALU_DEP_2)
	v_ldexp_f32 v102, v6, 1
	v_mul_f32_e32 v106, v2, v20
	v_bfe_u32 v2, v122, 29, 1
	v_lshrrev_b32_e32 v74, 29, v120
	v_alignbit_b32 v6, v118, v119, 30
	v_rcp_f32_e32 v104, v102
	v_dual_add_nc_u32 v101, -1, v5 :: v_dual_sub_nc_u32 v103, v3, v5
	v_alignbit_b32 v5, v122, v118, 30
	v_sub_nc_u32_e32 v122, 0, v2
	v_alignbit_b32 v3, v120, v115, 30
	v_xor_b32_e32 v120, v121, v126
	v_cmp_lt_i32_e64 s5, 12, v103
	s_delay_alu instid0(VALU_DEP_4) | instskip(SKIP_2) | instid1(VALU_DEP_3)
	v_xor_b32_e32 v125, v5, v122
	v_alignbit_b32 v5, v115, v116, 30
	v_xor_b32_e32 v24, v117, v122
	v_clz_i32_u32_e32 v7, v125
	s_delay_alu instid0(VALU_DEP_3) | instskip(NEXT) | instid1(VALU_DEP_2)
	v_xor_b32_e32 v5, v5, v126
	v_min_u32_e32 v8, 32, v7
	s_delay_alu instid0(VALU_DEP_1) | instskip(NEXT) | instid1(VALU_DEP_1)
	v_dual_sub_nc_u32 v7, 31, v8 :: v_dual_bitop2_b32 v124, v3, v126 bitop3:0x14
	v_clz_i32_u32_e32 v3, v124
	s_delay_alu instid0(VALU_DEP_1) | instskip(NEXT) | instid1(VALU_DEP_1)
	v_min_u32_e32 v3, 32, v3
	v_sub_nc_u32_e32 v9, 31, v3
	s_delay_alu instid0(VALU_DEP_1) | instskip(SKIP_2) | instid1(VALU_DEP_2)
	v_alignbit_b32 v11, v124, v5, v9
	v_alignbit_b32 v5, v5, v120, v9
	v_xor_b32_e32 v6, v6, v122
	v_alignbit_b32 v9, v11, v5, 9
	s_delay_alu instid0(VALU_DEP_2) | instskip(SKIP_1) | instid1(VALU_DEP_3)
	v_alignbit_b32 v14, v125, v6, v7
	v_alignbit_b32 v6, v6, v24, v7
	v_clz_i32_u32_e32 v24, v9
	s_delay_alu instid0(VALU_DEP_2) | instskip(NEXT) | instid1(VALU_DEP_2)
	v_alignbit_b32 v7, v14, v6, 9
	v_min_u32_e32 v25, 32, v24
	v_add_nc_u32_e32 v24, v123, v114
	s_delay_alu instid0(VALU_DEP_3) | instskip(NEXT) | instid1(VALU_DEP_3)
	v_clz_i32_u32_e32 v31, v7
	v_xor_b32_e32 v76, -1, v25
	v_add_lshl_u32 v25, v25, v3, 23
	s_delay_alu instid0(VALU_DEP_3) | instskip(SKIP_1) | instid1(VALU_DEP_4)
	v_min_u32_e32 v31, 32, v31
	v_lshlrev_b32_e32 v3, 23, v3
	v_alignbit_b32 v5, v9, v5, v76
	s_delay_alu instid0(VALU_DEP_3) | instskip(SKIP_1) | instid1(VALU_DEP_3)
	v_xor_b32_e32 v77, -1, v31
	v_add_lshl_u32 v31, v8, v31, 23
	v_dual_lshlrev_b32 v8, 23, v8 :: v_dual_lshrrev_b32 v5, 9, v5
	v_lshlrev_b32_e32 v9, 31, v74
	s_delay_alu instid0(VALU_DEP_4) | instskip(NEXT) | instid1(VALU_DEP_2)
	v_alignbit_b32 v6, v7, v6, v77
	v_or_b32_e32 v7, 0x33000000, v9
	s_delay_alu instid0(VALU_DEP_1) | instskip(NEXT) | instid1(VALU_DEP_1)
	v_dual_lshrrev_b32 v6, 9, v6 :: v_dual_sub_nc_u32 v7, v7, v25
	v_dual_lshlrev_b32 v10, 31, v10 :: v_dual_bitop2_b32 v7, v7, v5 bitop3:0x54
	v_dual_lshrrev_b32 v5, 9, v11 :: v_dual_bitop2_b32 v9, 0.5, v9 bitop3:0x54
	v_lshrrev_b32_e32 v11, 9, v14
	s_delay_alu instid0(VALU_DEP_3) | instskip(NEXT) | instid1(VALU_DEP_3)
	v_or_b32_e32 v74, 0x33000000, v10
	v_dual_sub_nc_u32 v3, v9, v3 :: v_dual_bitop2_b32 v10, 0.5, v10 bitop3:0x54
	s_delay_alu instid0(VALU_DEP_2) | instskip(NEXT) | instid1(VALU_DEP_2)
	v_sub_nc_u32_e32 v25, v74, v31
	v_dual_sub_nc_u32 v8, v10, v8 :: v_dual_bitop2_b32 v9, v5, v3 bitop3:0x54
	v_add_nc_u32_e32 v5, v2, v113
	v_pk_fma_f32 v[2:3], v[72:73], s[42:43], v[70:71] op_sel_hi:[1,0,1]
	s_delay_alu instid0(VALU_DEP_4) | instskip(NEXT) | instid1(VALU_DEP_4)
	v_or_b32_e32 v6, v25, v6
	v_or_b32_e32 v8, v11, v8
	v_mov_b32_e32 v25, v15
	s_delay_alu instid0(VALU_DEP_4) | instskip(NEXT) | instid1(VALU_DEP_3)
	v_pk_fma_f32 v[2:3], v[72:73], s[40:41], v[2:3] op_sel_hi:[1,0,1]
	v_pk_mul_f32 v[10:11], v[8:9], s[44:45] op_sel_hi:[1,0]
	s_delay_alu instid0(VALU_DEP_2) | instskip(SKIP_1) | instid1(VALU_DEP_3)
	v_pk_fma_f32 v[2:3], v[72:73], s[38:39], v[2:3] op_sel_hi:[1,0,1]
	v_mov_b32_e32 v73, v15
	v_pk_fma_f32 v[76:77], v[8:9], s[44:45], v[10:11] op_sel_hi:[1,0,1] neg_lo:[0,0,1] neg_hi:[0,0,1]
	s_delay_alu instid0(VALU_DEP_1) | instskip(SKIP_1) | instid1(VALU_DEP_2)
	v_pk_fma_f32 v[8:9], v[8:9], s[46:47], v[76:77] op_sel_hi:[1,0,1]
	v_mov_b32_e32 v77, v15
	v_pk_fma_f32 v[6:7], v[6:7], s[44:45], v[8:9] op_sel_hi:[1,0,1]
	s_delay_alu instid0(VALU_DEP_1) | instskip(SKIP_1) | instid1(VALU_DEP_2)
	v_pk_add_f32 v[6:7], v[10:11], v[6:7]
	v_dual_cndmask_b32 v8, v24, v109, s12 :: v_dual_mov_b32 v11, v15
	v_dual_cndmask_b32 v3, v7, v3, s12 :: v_dual_cndmask_b32 v2, v6, v2, vcc_lo
	s_delay_alu instid0(VALU_DEP_2) | instskip(NEXT) | instid1(VALU_DEP_2)
	v_and_b32_e32 v9, 1, v8
	v_pk_mul_f32 v[6:7], v[2:3], v[2:3]
	s_delay_alu instid0(VALU_DEP_2) | instskip(SKIP_2) | instid1(VALU_DEP_4)
	v_cmp_eq_u32_e64 s12, 0, v9
	v_cndmask_b32_e32 v5, v5, v112, vcc_lo
	v_lshlrev_b32_e32 v10, 30, v8
	v_pk_fma_f32 v[8:9], v[6:7], s[30:31], s[54:55] op_sel_hi:[1,0,0]
	s_delay_alu instid0(VALU_DEP_1) | instskip(NEXT) | instid1(VALU_DEP_1)
	v_pk_fma_f32 v[8:9], v[6:7], v[8:9], s[52:53] op_sel_hi:[1,1,0]
	v_pk_mul_f32 v[8:9], v[6:7], v[8:9]
	s_delay_alu instid0(VALU_DEP_1) | instskip(SKIP_1) | instid1(VALU_DEP_1)
	v_pk_fma_f32 v[2:3], v[2:3], v[8:9], v[2:3]
	v_pk_fma_f32 v[8:9], v[6:7], s[34:35], s[50:51] op_sel_hi:[1,0,0]
	v_pk_fma_f32 v[8:9], v[6:7], v[8:9], s[48:49] op_sel_hi:[1,1,0]
	s_delay_alu instid0(VALU_DEP_1) | instskip(NEXT) | instid1(VALU_DEP_1)
	v_pk_fma_f32 v[8:9], v[6:7], v[8:9], s[24:25] op_sel_hi:[1,1,0]
	v_pk_fma_f32 v[6:7], v[6:7], v[8:9], 1.0 op_sel_hi:[1,1,0]
	s_delay_alu instid0(VALU_DEP_1) | instskip(SKIP_1) | instid1(VALU_DEP_2)
	v_dual_cndmask_b32 v3, v7, v3, s12 :: v_dual_bitop2_b32 v8, 1, v5 bitop3:0x40
	v_lshlrev_b32_e32 v5, 30, v5
	v_cmp_eq_u32_e32 vcc_lo, 0, v8
	s_delay_alu instid0(VALU_DEP_2) | instskip(SKIP_2) | instid1(VALU_DEP_3)
	v_and_b32_e32 v5, 0x80000000, v5
	v_cndmask_b32_e32 v2, v6, v2, vcc_lo
	v_and_b32_e32 v6, 0x80000000, v10
	v_xor_b32_e32 v5, v5, v107
	s_delay_alu instid0(VALU_DEP_2) | instskip(NEXT) | instid1(VALU_DEP_2)
	v_xor_b32_e32 v6, v6, v108
	v_xor_b32_e32 v2, v5, v2
	v_div_scale_f32 v5, null, v62, v62, v19
	s_delay_alu instid0(VALU_DEP_3) | instskip(NEXT) | instid1(VALU_DEP_2)
	v_xor_b32_e32 v3, v6, v3
	v_rcp_f32_e32 v6, v5
	v_nop
	s_delay_alu instid0(TRANS32_DEP_1) | instskip(NEXT) | instid1(VALU_DEP_1)
	v_fma_f32 v7, -v5, v6, 1.0
	v_fmac_f32_e32 v6, v7, v6
	v_div_scale_f32 v7, vcc_lo, v19, v62, v19
	s_delay_alu instid0(VALU_DEP_1) | instskip(NEXT) | instid1(VALU_DEP_1)
	v_mul_f32_e32 v8, v7, v6
	v_dual_fma_f32 v9, -v5, v8, v7 :: v_dual_bitop2_b32 v3, v3, v71 bitop3:0x14
	s_delay_alu instid0(VALU_DEP_1) | instskip(SKIP_1) | instid1(VALU_DEP_3)
	v_fmac_f32_e32 v8, v9, v6
	v_xor_b32_e32 v2, v2, v70
	v_cndmask_b32_e64 v3, 0x7fc00000, v3, s11
	s_delay_alu instid0(VALU_DEP_3) | instskip(NEXT) | instid1(VALU_DEP_3)
	v_fma_f32 v5, -v5, v8, v7
	v_cndmask_b32_e64 v2, 0x7fc00000, v2, s10
	s_delay_alu instid0(VALU_DEP_2) | instskip(NEXT) | instid1(VALU_DEP_2)
	v_div_fmas_f32 v5, v5, v6, v8
	v_pk_fma_f32 v[2:3], v[64:65], v[2:3], v[18:19]
	s_delay_alu instid0(VALU_DEP_2) | instskip(SKIP_1) | instid1(VALU_DEP_2)
	v_div_fixup_f32 v115, v5, v62, v19
	v_div_scale_f32 v5, null, v63, v63, v18
	v_and_b32_e32 v64, 0x7fffffff, v115
	s_delay_alu instid0(VALU_DEP_2) | instskip(SKIP_1) | instid1(TRANS32_DEP_1)
	v_rcp_f32_e32 v6, v5
	v_nop
	v_fma_f32 v7, -v5, v6, 1.0
	s_delay_alu instid0(VALU_DEP_1) | instskip(SKIP_1) | instid1(VALU_DEP_1)
	v_fmac_f32_e32 v6, v7, v6
	v_div_scale_f32 v7, vcc_lo, v18, v63, v18
	v_mul_f32_e32 v8, v7, v6
	s_delay_alu instid0(VALU_DEP_1) | instskip(NEXT) | instid1(VALU_DEP_1)
	v_fma_f32 v9, -v5, v8, v7
	v_dual_fmac_f32 v8, v9, v6 :: v_dual_mov_b32 v9, v15
	s_delay_alu instid0(VALU_DEP_1) | instskip(NEXT) | instid1(VALU_DEP_1)
	v_dual_fma_f32 v5, -v5, v8, v7 :: v_dual_mov_b32 v7, v15
	v_div_fmas_f32 v5, v5, v6, v8
	s_delay_alu instid0(VALU_DEP_1) | instskip(NEXT) | instid1(VALU_DEP_1)
	v_div_fixup_f32 v116, v5, v63, v18
	v_and_b32_e32 v65, 0x7fffffff, v116
	s_delay_alu instid0(VALU_DEP_1) | instskip(SKIP_1) | instid1(VALU_DEP_2)
	v_lshrrev_b32_e32 v5, 23, v65
	v_and_or_b32 v14, v65, s31, 0x800000
	v_add_nc_u32_e32 v5, 0xffffff88, v5
	s_delay_alu instid0(VALU_DEP_2) | instskip(NEXT) | instid1(VALU_DEP_2)
	v_mul_u64_e32 v[70:71], s[28:29], v[14:15]
	v_cmp_lt_u32_e32 vcc_lo, 63, v5
	v_cndmask_b32_e64 v6, 0, 0xffffffc0, vcc_lo
	s_delay_alu instid0(VALU_DEP_1) | instskip(NEXT) | instid1(VALU_DEP_1)
	v_add_nc_u32_e32 v5, v6, v5
	v_cmp_lt_u32_e64 s10, 31, v5
	s_delay_alu instid0(VALU_DEP_1) | instskip(NEXT) | instid1(VALU_DEP_1)
	v_cndmask_b32_e64 v6, 0, 0xffffffe0, s10
	v_add_nc_u32_e32 v5, v6, v5
	s_delay_alu instid0(VALU_DEP_1) | instskip(NEXT) | instid1(VALU_DEP_1)
	v_cmp_lt_u32_e64 s11, 31, v5
	v_cndmask_b32_e64 v6, 0, 0xffffffe0, s11
	s_delay_alu instid0(VALU_DEP_1) | instskip(NEXT) | instid1(VALU_DEP_1)
	v_dual_mov_b32 v6, v71 :: v_dual_add_nc_u32 v5, v6, v5
	v_mad_nc_u64_u32 v[6:7], 0x3c439041, v14, v[6:7]
	s_delay_alu instid0(VALU_DEP_1) | instskip(NEXT) | instid1(VALU_DEP_3)
	v_mov_b32_e32 v8, v7
	v_cmp_eq_u32_e64 s12, 0, v5
	s_delay_alu instid0(VALU_DEP_2) | instskip(NEXT) | instid1(VALU_DEP_1)
	v_mad_nc_u64_u32 v[8:9], 0xdb629599, v14, v[8:9]
	v_mov_b32_e32 v10, v9
	s_delay_alu instid0(VALU_DEP_1) | instskip(NEXT) | instid1(VALU_DEP_1)
	v_mad_nc_u64_u32 v[10:11], 0xf534ddc0, v14, v[10:11]
	v_dual_cndmask_b32 v6, v10, v6 :: v_dual_sub_nc_u32 v5, 32, v5
	s_delay_alu instid0(VALU_DEP_2) | instskip(NEXT) | instid1(VALU_DEP_1)
	v_mov_b32_e32 v24, v11
	v_mad_nc_u64_u32 v[24:25], 0xfc2757d1, v14, v[24:25]
	s_delay_alu instid0(VALU_DEP_1) | instskip(NEXT) | instid1(VALU_DEP_1)
	v_mov_b32_e32 v72, v25
	v_mad_nc_u64_u32 v[72:73], 0x4e441529, v14, v[72:73]
	s_delay_alu instid0(VALU_DEP_1) | instskip(NEXT) | instid1(VALU_DEP_1)
	v_dual_cndmask_b32 v7, v72, v10 :: v_dual_mov_b32 v76, v73
	v_mad_nc_u64_u32 v[76:77], 0xa2f9836e, v14, v[76:77]
	s_delay_alu instid0(VALU_DEP_1) | instskip(NEXT) | instid1(VALU_DEP_2)
	v_cndmask_b32_e32 v9, v76, v24, vcc_lo
	v_cndmask_b32_e32 v14, v77, v72, vcc_lo
	s_delay_alu instid0(VALU_DEP_1) | instskip(NEXT) | instid1(VALU_DEP_1)
	v_dual_cndmask_b32 v11, v9, v7, s10 :: v_dual_cndmask_b32 v9, v14, v9, s10
	v_dual_cndmask_b32 v14, v24, v8, vcc_lo :: v_dual_cndmask_b32 v9, v9, v11, s11
	s_delay_alu instid0(VALU_DEP_1) | instskip(NEXT) | instid1(VALU_DEP_1)
	v_cndmask_b32_e64 v7, v7, v14, s10
	v_cndmask_b32_e64 v11, v11, v7, s11
	s_delay_alu instid0(VALU_DEP_1) | instskip(NEXT) | instid1(VALU_DEP_1)
	v_alignbit_b32 v24, v9, v11, v5
	v_dual_cndmask_b32 v119, v24, v9, s12 :: v_dual_cndmask_b32 v9, v14, v6, s10
	v_and_or_b32 v14, v64, s31, 0x800000
	s_delay_alu instid0(VALU_DEP_2) | instskip(NEXT) | instid1(VALU_DEP_2)
	v_dual_lshrrev_b32 v74, 30, v119 :: v_dual_cndmask_b32 v7, v7, v9, s11
	v_mul_u64_e32 v[72:73], s[28:29], v[14:15]
	s_delay_alu instid0(VALU_DEP_2) | instskip(NEXT) | instid1(VALU_DEP_1)
	v_alignbit_b32 v10, v11, v7, v5
	v_dual_cndmask_b32 v118, v10, v11, s12 :: v_dual_cndmask_b32 v8, v8, v70, vcc_lo
	s_delay_alu instid0(VALU_DEP_1) | instskip(NEXT) | instid1(VALU_DEP_1)
	v_dual_mov_b32 v11, v15 :: v_dual_cndmask_b32 v6, v6, v8, s10
	v_dual_cndmask_b32 v6, v9, v6, s11 :: v_dual_mov_b32 v9, v15
	s_delay_alu instid0(VALU_DEP_1) | instskip(NEXT) | instid1(VALU_DEP_1)
	v_alignbit_b32 v5, v7, v6, v5
	v_cndmask_b32_e64 v120, v5, v7, s12
	v_mul_f32_e64 v5, 0x3f22f983, |v116|
	v_mov_b32_e32 v7, v15
	s_delay_alu instid0(VALU_DEP_2) | instskip(SKIP_2) | instid1(VALU_DEP_3)
	v_rndne_f32_e32 v71, v5
	v_lshrrev_b32_e32 v5, 23, v64
	v_alignbit_b32 v121, v120, v6, 30
	v_cvt_i32_f32_e32 v117, v71
	s_delay_alu instid0(VALU_DEP_3) | instskip(NEXT) | instid1(VALU_DEP_1)
	v_add_nc_u32_e32 v5, 0xffffff88, v5
	v_cmp_lt_u32_e64 s12, 63, v5
	s_delay_alu instid0(VALU_DEP_1) | instskip(NEXT) | instid1(VALU_DEP_1)
	v_cndmask_b32_e64 v6, 0, 0xffffffc0, s12
	v_add_nc_u32_e32 v5, v6, v5
	s_delay_alu instid0(VALU_DEP_1) | instskip(NEXT) | instid1(VALU_DEP_1)
	v_cmp_lt_u32_e64 s11, 31, v5
	v_cndmask_b32_e64 v6, 0, 0xffffffe0, s11
	s_delay_alu instid0(VALU_DEP_1) | instskip(NEXT) | instid1(VALU_DEP_1)
	v_add_nc_u32_e32 v5, v6, v5
	v_cmp_lt_u32_e64 s10, 31, v5
	s_delay_alu instid0(VALU_DEP_1) | instskip(NEXT) | instid1(VALU_DEP_1)
	v_cndmask_b32_e64 v6, 0, 0xffffffe0, s10
	v_dual_mov_b32 v6, v73 :: v_dual_add_nc_u32 v5, v6, v5
	s_delay_alu instid0(VALU_DEP_1) | instskip(NEXT) | instid1(VALU_DEP_2)
	v_cmp_eq_u32_e32 vcc_lo, 0, v5
	v_mad_nc_u64_u32 v[6:7], 0x3c439041, v14, v[6:7]
	s_delay_alu instid0(VALU_DEP_1) | instskip(NEXT) | instid1(VALU_DEP_1)
	v_mov_b32_e32 v8, v7
	v_mad_nc_u64_u32 v[8:9], 0xdb629599, v14, v[8:9]
	s_delay_alu instid0(VALU_DEP_1) | instskip(NEXT) | instid1(VALU_DEP_1)
	v_dual_mov_b32 v10, v9 :: v_dual_cndmask_b32 v72, v8, v72, s12
	v_mad_nc_u64_u32 v[24:25], 0xf534ddc0, v14, v[10:11]
	s_delay_alu instid0(VALU_DEP_1) | instskip(NEXT) | instid1(VALU_DEP_1)
	v_dual_mov_b32 v77, v15 :: v_dual_mov_b32 v10, v25
	v_mad_nc_u64_u32 v[10:11], 0xfc2757d1, v14, v[10:11]
	s_delay_alu instid0(VALU_DEP_1) | instskip(NEXT) | instid1(VALU_DEP_1)
	v_mov_b32_e32 v76, v11
	v_mad_nc_u64_u32 v[76:77], 0x4e441529, v14, v[76:77]
	s_delay_alu instid0(VALU_DEP_1) | instskip(NEXT) | instid1(VALU_DEP_1)
	v_dual_mov_b32 v78, v77 :: v_dual_cndmask_b32 v7, v76, v24, s12
	v_mad_nc_u64_u32 v[78:79], 0xa2f9836e, v14, v[78:79]
	s_delay_alu instid0(VALU_DEP_1) | instskip(NEXT) | instid1(VALU_DEP_1)
	v_dual_cndmask_b32 v9, v78, v10, s12 :: v_dual_cndmask_b32 v14, v79, v76, s12
	v_dual_cndmask_b32 v11, v9, v7, s11 :: v_dual_cndmask_b32 v9, v14, v9, s11
	v_dual_cndmask_b32 v14, v10, v8, s12 :: v_dual_sub_nc_u32 v10, 32, v5
	s_delay_alu instid0(VALU_DEP_1) | instskip(NEXT) | instid1(VALU_DEP_1)
	v_dual_cndmask_b32 v9, v9, v11, s10 :: v_dual_cndmask_b32 v7, v7, v14, s11
	v_cndmask_b32_e64 v11, v11, v7, s10
	s_delay_alu instid0(VALU_DEP_1) | instskip(NEXT) | instid1(VALU_DEP_1)
	v_alignbit_b32 v5, v9, v11, v10
	v_dual_cndmask_b32 v122, v5, v9, vcc_lo :: v_dual_cndmask_b32 v107, v24, v6, s12
	v_bfe_u32 v24, v119, 29, 1
	s_delay_alu instid0(VALU_DEP_2) | instskip(SKIP_1) | instid1(VALU_DEP_2)
	v_dual_lshrrev_b32 v123, 30, v122 :: v_dual_cndmask_b32 v70, v14, v107, s11
	v_lshrrev_b32_e32 v69, 29, v122
	v_cndmask_b32_e64 v62, v7, v70, s10
	s_delay_alu instid0(VALU_DEP_1) | instskip(NEXT) | instid1(VALU_DEP_1)
	v_alignbit_b32 v5, v11, v62, v10
	v_dual_cndmask_b32 v73, v5, v11, vcc_lo :: v_dual_cndmask_b32 v5, v107, v72, s11
	s_delay_alu instid0(VALU_DEP_1) | instskip(SKIP_1) | instid1(VALU_DEP_2)
	v_dual_lshrrev_b32 v72, 29, v119 :: v_dual_cndmask_b32 v5, v70, v5, s10
	v_cmp_class_f32_e64 s10, v116, 0x1f8
	v_alignbit_b32 v6, v62, v5, v10
	s_delay_alu instid0(VALU_DEP_1) | instskip(SKIP_3) | instid1(VALU_DEP_4)
	v_cndmask_b32_e32 v80, v6, v62, vcc_lo
	v_cndmask_b32_e64 v62, v22, v45, s8
	v_bfe_u32 v22, v122, 29, 1
	v_cmp_class_f32_e64 vcc_lo, v115, 0x1f8
	v_alignbit_b32 v25, v80, v5, 30
	v_mul_f32_e64 v5, 0x3f22f983, |v115|
	v_mul_f32_e32 v6, v62, v62
	v_alignbit_b32 v9, v73, v80, 30
	s_delay_alu instid0(VALU_DEP_3) | instskip(SKIP_1) | instid1(VALU_DEP_4)
	v_rndne_f32_e32 v70, v5
	v_cndmask_b32_e64 v5, v33, v67, s8
	v_fmaak_f32 v7, s30, v6, 0x3c0881c4
	s_delay_alu instid0(VALU_DEP_3) | instskip(NEXT) | instid1(VALU_DEP_3)
	v_cvt_i32_f32_e32 v10, v70
	v_and_b32_e32 v108, 1, v5
	s_delay_alu instid0(VALU_DEP_3) | instskip(SKIP_1) | instid1(VALU_DEP_3)
	v_fmaak_f32 v7, v6, v7, 0xbe2aaa9d
	v_lshlrev_b32_e32 v5, 30, v5
	v_cmp_eq_u32_e64 s8, 0, v108
	s_delay_alu instid0(VALU_DEP_3) | instskip(NEXT) | instid1(VALU_DEP_3)
	v_mul_f32_e32 v7, v6, v7
	v_and_b32_e32 v109, 0x80000000, v5
	s_delay_alu instid0(VALU_DEP_2) | instskip(NEXT) | instid1(VALU_DEP_1)
	v_dual_fmac_f32 v62, v62, v7 :: v_dual_fmaak_f32 v7, s34, v6, 0xbab64f3b
	v_fmaak_f32 v7, v6, v7, 0x3d2aabf7
	s_delay_alu instid0(VALU_DEP_1) | instskip(NEXT) | instid1(VALU_DEP_1)
	v_fmaak_f32 v7, v6, v7, 0xbf000004
	v_fma_f32 v107, v6, v7, 1.0
	s_delay_alu instid0(VALU_DEP_1) | instskip(NEXT) | instid1(VALU_DEP_1)
	v_cndmask_b32_e64 v6, -v62, v107, s8
	v_bitop3_b32 v5, v5, v6, 0x80000000 bitop3:0x6c
	s_delay_alu instid0(VALU_DEP_1) | instskip(SKIP_2) | instid1(VALU_DEP_2)
	v_cndmask_b32_e64 v33, 0x7fc00000, v5, s3
	v_dual_cndmask_b32 v5, v75, v111, s9 :: v_dual_mul_f32 v6, v110, v110
	v_cmp_gt_f32_e64 s9, 0x48000000, |v116|
	v_and_b32_e32 v112, 1, v5
	s_delay_alu instid0(VALU_DEP_3) | instskip(SKIP_1) | instid1(VALU_DEP_3)
	v_fmaak_f32 v7, s30, v6, 0x3c0881c4
	v_lshlrev_b32_e32 v5, 30, v5
	v_cmp_eq_u32_e64 s8, 0, v112
	s_delay_alu instid0(VALU_DEP_3) | instskip(NEXT) | instid1(VALU_DEP_3)
	v_fmaak_f32 v7, v6, v7, 0xbe2aaa9d
	v_and_b32_e32 v113, 0x80000000, v5
	s_delay_alu instid0(VALU_DEP_2) | instskip(NEXT) | instid1(VALU_DEP_1)
	v_mul_f32_e32 v7, v6, v7
	v_dual_fmac_f32 v110, v110, v7 :: v_dual_fmaak_f32 v7, s34, v6, 0xbab64f3b
	s_delay_alu instid0(VALU_DEP_1) | instskip(NEXT) | instid1(VALU_DEP_1)
	v_fmaak_f32 v7, v6, v7, 0x3d2aabf7
	v_fmaak_f32 v7, v6, v7, 0xbf000004
	s_delay_alu instid0(VALU_DEP_1) | instskip(NEXT) | instid1(VALU_DEP_1)
	v_fma_f32 v111, v6, v7, 1.0
	v_dual_sub_nc_u32 v7, 0, v24 :: v_dual_cndmask_b32 v6, -v110, v111, s8
	s_delay_alu instid0(VALU_DEP_1) | instskip(SKIP_1) | instid1(VALU_DEP_3)
	v_xor_b32_e32 v75, v121, v7
	v_cmp_gt_f32_e64 s8, 0x48000000, |v115|
	v_bitop3_b32 v5, v5, v6, 0x80000000 bitop3:0x6c
	v_alignbit_b32 v6, v122, v73, 30
	s_delay_alu instid0(VALU_DEP_2) | instskip(SKIP_2) | instid1(VALU_DEP_2)
	v_cndmask_b32_e64 v114, 0x7fc00000, v5, s4
	v_alignbit_b32 v5, v119, v118, 30
	v_dual_sub_nc_u32 v45, 0, v22 :: v_dual_add_nc_u32 v22, v22, v123
	v_xor_b32_e32 v5, v5, v7
	s_delay_alu instid0(VALU_DEP_2) | instskip(NEXT) | instid1(VALU_DEP_2)
	v_xor_b32_e32 v6, v6, v45
	v_clz_i32_u32_e32 v8, v5
	s_delay_alu instid0(VALU_DEP_1)
	v_min_u32_e32 v67, 32, v8
	v_alignbit_b32 v8, v118, v120, 30
	scratch_load_b64 v[118:119], off, off offset:24 ; 8-byte Folded Reload
	v_dual_sub_nc_u32 v14, 31, v67 :: v_dual_bitop2_b32 v25, v25, v45 bitop3:0x14
	v_xor_b32_e32 v7, v8, v7
	v_dual_add_nc_u32 v45, v24, v74 :: v_dual_bitop2_b32 v8, v9, v45 bitop3:0x14
	v_clz_i32_u32_e32 v9, v6
	s_delay_alu instid0(VALU_DEP_2) | instskip(NEXT) | instid1(VALU_DEP_2)
	v_cndmask_b32_e64 v45, v45, v117, s9
	v_min_u32_e32 v9, 32, v9
	s_delay_alu instid0(VALU_DEP_1) | instskip(NEXT) | instid1(VALU_DEP_1)
	v_sub_nc_u32_e32 v11, 31, v9
	v_alignbit_b32 v6, v6, v8, v11
	v_alignbit_b32 v8, v8, v25, v11
	s_delay_alu instid0(VALU_DEP_1) | instskip(SKIP_1) | instid1(VALU_DEP_2)
	v_alignbit_b32 v11, v6, v8, 9
	v_lshrrev_b32_e32 v6, 9, v6
	v_clz_i32_u32_e32 v24, v11
	s_delay_alu instid0(VALU_DEP_1) | instskip(NEXT) | instid1(VALU_DEP_1)
	v_min_u32_e32 v24, 32, v24
	v_xor_b32_e32 v73, -1, v24
	v_add_lshl_u32 v24, v9, v24, 23
	v_lshlrev_b32_e32 v9, 23, v9
	s_delay_alu instid0(VALU_DEP_3) | instskip(SKIP_3) | instid1(VALU_DEP_4)
	v_alignbit_b32 v8, v11, v8, v73
	v_lshlrev_b32_e32 v11, 31, v72
	v_alignbit_b32 v5, v5, v7, v14
	v_alignbit_b32 v7, v7, v75, v14
	v_lshrrev_b32_e32 v8, 9, v8
	s_delay_alu instid0(VALU_DEP_2) | instskip(SKIP_1) | instid1(VALU_DEP_2)
	v_alignbit_b32 v14, v5, v7, 9
	v_lshrrev_b32_e32 v5, 9, v5
	v_clz_i32_u32_e32 v25, v14
	s_delay_alu instid0(VALU_DEP_1) | instskip(NEXT) | instid1(VALU_DEP_1)
	v_min_u32_e32 v25, 32, v25
	v_xor_b32_e32 v31, -1, v25
	v_add_lshl_u32 v25, v25, v67, 23
	s_delay_alu instid0(VALU_DEP_2) | instskip(SKIP_2) | instid1(VALU_DEP_3)
	v_alignbit_b32 v7, v14, v7, v31
	v_lshlrev_b32_e32 v14, 31, v69
	v_or_b32_e32 v31, 0x33000000, v11
	v_lshrrev_b32_e32 v7, 9, v7
	s_delay_alu instid0(VALU_DEP_3) | instskip(NEXT) | instid1(VALU_DEP_1)
	v_or_b32_e32 v69, 0x33000000, v14
	v_dual_sub_nc_u32 v25, v31, v25 :: v_dual_sub_nc_u32 v24, v69, v24
	s_delay_alu instid0(VALU_DEP_1) | instskip(SKIP_1) | instid1(VALU_DEP_3)
	v_or_b32_e32 v73, v25, v7
	v_or_b32_e32 v7, 0.5, v11
	v_dual_lshlrev_b32 v11, 23, v67 :: v_dual_bitop2_b32 v72, v24, v8 bitop3:0x54
	v_or_b32_e32 v8, 0.5, v14
	s_delay_alu instid0(VALU_DEP_2) | instskip(NEXT) | instid1(VALU_DEP_1)
	v_dual_cndmask_b32 v14, v22, v10, s8 :: v_dual_sub_nc_u32 v7, v7, v11
	v_dual_sub_nc_u32 v8, v8, v9 :: v_dual_bitop2_b32 v75, v5, v7 bitop3:0x54
	v_and_b32_e32 v5, 1, v45
	s_delay_alu instid0(VALU_DEP_2) | instskip(NEXT) | instid1(VALU_DEP_1)
	v_or_b32_e32 v74, v6, v8
	v_pk_mul_f32 v[6:7], v[74:75], s[44:45] op_sel_hi:[1,0]
	s_delay_alu instid0(VALU_DEP_1) | instskip(NEXT) | instid1(VALU_DEP_1)
	v_pk_fma_f32 v[8:9], v[74:75], s[44:45], v[6:7] op_sel_hi:[1,0,1] neg_lo:[0,0,1] neg_hi:[0,0,1]
	v_pk_fma_f32 v[8:9], v[74:75], s[46:47], v[8:9] op_sel_hi:[1,0,1]
	s_delay_alu instid0(VALU_DEP_1) | instskip(NEXT) | instid1(VALU_DEP_1)
	v_pk_fma_f32 v[8:9], v[72:73], s[44:45], v[8:9] op_sel_hi:[1,0,1]
	v_pk_add_f32 v[6:7], v[6:7], v[8:9]
	v_pk_fma_f32 v[8:9], v[70:71], s[42:43], v[64:65] op_sel_hi:[1,0,1]
	s_delay_alu instid0(VALU_DEP_1) | instskip(NEXT) | instid1(VALU_DEP_1)
	v_pk_fma_f32 v[8:9], v[70:71], s[40:41], v[8:9] op_sel_hi:[1,0,1]
	v_pk_fma_f32 v[8:9], v[70:71], s[38:39], v[8:9] op_sel_hi:[1,0,1]
	s_delay_alu instid0(VALU_DEP_1) | instskip(SKIP_3) | instid1(VALU_DEP_4)
	v_dual_cndmask_b32 v71, v7, v9, s9 :: v_dual_cndmask_b32 v70, v6, v8, s8
	v_cmp_eq_u32_e64 s9, 0, v5
	v_dual_lshlrev_b32 v5, 30, v45 :: v_dual_mov_b32 v45, v1
	v_add_f32_e32 v1, v66, v68
	v_pk_mul_f32 v[6:7], v[70:71], v[70:71]
                                        ; implicit-def: $vgpr66
	s_delay_alu instid0(VALU_DEP_1) | instskip(SKIP_1) | instid1(VALU_DEP_2)
	v_pk_fma_f32 v[10:11], v[6:7], s[34:35], s[50:51] op_sel_hi:[1,0,0]
	v_pk_fma_f32 v[8:9], v[6:7], s[30:31], s[54:55] op_sel_hi:[1,0,0]
	;; [unrolled: 1-line block ×3, first 2 shown]
	s_delay_alu instid0(VALU_DEP_2) | instskip(NEXT) | instid1(VALU_DEP_2)
	v_pk_fma_f32 v[8:9], v[6:7], v[8:9], s[52:53] op_sel_hi:[1,1,0]
	v_pk_fma_f32 v[10:11], v[6:7], v[10:11], s[24:25] op_sel_hi:[1,1,0]
	s_delay_alu instid0(VALU_DEP_2) | instskip(SKIP_1) | instid1(VALU_DEP_2)
	v_pk_mul_f32 v[8:9], v[6:7], v[8:9]
	s_mov_b32 s24, s25
	v_pk_fma_f32 v[6:7], v[6:7], v[10:11], 1.0 op_sel_hi:[1,1,0]
	v_and_b32_e32 v10, 1, v14
	s_delay_alu instid0(VALU_DEP_3) | instskip(SKIP_1) | instid1(VALU_DEP_3)
	v_pk_fma_f32 v[8:9], v[70:71], v[8:9], v[70:71]
	v_and_b32_e32 v5, 0x80000000, v5
	v_cmp_eq_u32_e64 s8, 0, v10
	s_delay_alu instid0(VALU_DEP_2) | instskip(NEXT) | instid1(VALU_DEP_2)
	v_dual_cndmask_b32 v7, v7, v9, s9 :: v_dual_bitop2_b32 v5, v5, v116 bitop3:0x14
	v_dual_cndmask_b32 v6, v6, v8, s8 :: v_dual_lshlrev_b32 v8, 30, v14
	s_delay_alu instid0(VALU_DEP_2) | instskip(NEXT) | instid1(VALU_DEP_2)
	v_xor_b32_e32 v5, v5, v7
	v_and_b32_e32 v8, 0x80000000, v8
	s_delay_alu instid0(VALU_DEP_2) | instskip(NEXT) | instid1(VALU_DEP_2)
	v_xor_b32_e32 v5, v5, v65
	v_xor_b32_e32 v8, v8, v115
	s_delay_alu instid0(VALU_DEP_2) | instskip(NEXT) | instid1(VALU_DEP_2)
	v_cndmask_b32_e64 v65, 0x7fc00000, v5, s10
	v_xor_b32_e32 v6, v8, v6
	s_delay_alu instid0(VALU_DEP_1) | instskip(NEXT) | instid1(VALU_DEP_1)
	v_xor_b32_e32 v6, v6, v64
	v_cndmask_b32_e32 v64, 0x7fc00000, v6, vcc_lo
	s_delay_alu instid0(VALU_DEP_1)
	v_pk_fma_f32 v[44:45], v[44:45], v[64:65], v[18:19]
	v_dual_mov_b32 v64, v59 :: v_dual_mov_b32 v65, v58
	v_mov_b64_e32 v[58:59], 0
	s_branch .LBB1_28
.LBB1_21:                               ;   in Loop: Header=BB1_28 Depth=1
	s_or_b32 exec_lo, exec_lo, s16
	s_wait_loadcnt 0x0
	s_delay_alu instid0(VALU_DEP_1)
	v_dual_mov_b32 v24, v67 :: v_dual_mov_b32 v25, v66
.LBB1_22:                               ;   in Loop: Header=BB1_28 Depth=1
	s_or_b32 exec_lo, exec_lo, s15
.LBB1_23:                               ;   in Loop: Header=BB1_28 Depth=1
	s_delay_alu instid0(SALU_CYCLE_1)
	s_or_b32 exec_lo, exec_lo, s12
.LBB1_24:                               ;   in Loop: Header=BB1_28 Depth=1
	s_delay_alu instid0(SALU_CYCLE_1)
	s_or_b32 exec_lo, exec_lo, s9
.LBB1_25:                               ;   in Loop: Header=BB1_28 Depth=1
	s_delay_alu instid0(SALU_CYCLE_1)
	s_or_b32 exec_lo, exec_lo, s8
	s_wait_loadcnt 0x0
	v_dual_mov_b32 v66, v25 :: v_dual_mov_b32 v67, v24
.LBB1_26:                               ;   in Loop: Header=BB1_28 Depth=1
	s_or_b32 exec_lo, exec_lo, s11
	s_wait_loadcnt 0x0
	s_delay_alu instid0(VALU_DEP_1)
	v_pk_fma_f32 v[58:59], v[22:23], v[66:67], v[58:59] op_sel_hi:[0,1,1]
.LBB1_27:                               ;   in Loop: Header=BB1_28 Depth=1
	s_or_b32 exec_lo, exec_lo, s10
	s_add_co_i32 s24, s24, 1
	s_delay_alu instid0(SALU_CYCLE_1)
	s_cmp_lg_u32 s24, 5
	s_cbranch_scc0 .LBB1_246
.LBB1_28:                               ; =>This Loop Header: Depth=1
                                        ;     Child Loop BB1_148 Depth 2
                                        ;     Child Loop BB1_161 Depth 2
	v_lshl_add_u64 v[68:69], s[24:25], 3, v[12:13]
	s_mov_b32 s10, exec_lo
	global_load_b32 v22, v[68:69], off offset:4
	s_wait_loadcnt 0x0
	s_wait_xcnt 0x0
	v_cmpx_ngt_f32_e64 0x3c23d70a, |v22|
	s_cbranch_execz .LBB1_27
; %bb.29:                               ;   in Loop: Header=BB1_28 Depth=1
	global_load_b32 v10, v[68:69], off
	s_mov_b32 s8, exec_lo
	s_wait_loadcnt 0x0
	s_wait_xcnt 0x0
	v_cmpx_lt_i32_e32 17, v10
	s_xor_b32 s11, exec_lo, s8
	s_cbranch_execz .LBB1_175
; %bb.30:                               ;   in Loop: Header=BB1_28 Depth=1
	s_mov_b32 s8, exec_lo
	v_cmpx_lt_i32_e32 33, v10
	s_xor_b32 s12, exec_lo, s8
	s_cbranch_execz .LBB1_116
; %bb.31:                               ;   in Loop: Header=BB1_28 Depth=1
	s_mov_b32 s8, exec_lo
	;; [unrolled: 5-line block ×6, first 2 shown]
	v_cmpx_eq_u32_e32 48, v10
	s_cbranch_execz .LBB1_37
; %bb.36:                               ;   in Loop: Header=BB1_28 Depth=1
	scratch_load_b64 v[66:67], off, off offset:52 ; 8-byte Folded Reload
.LBB1_37:                               ;   in Loop: Header=BB1_28 Depth=1
	s_wait_xcnt 0x0
	s_or_b32 exec_lo, exec_lo, s9
.LBB1_38:                               ;   in Loop: Header=BB1_28 Depth=1
	s_and_not1_saveexec_b32 s18, s8
	s_cbranch_execz .LBB1_48
; %bb.39:                               ;   in Loop: Header=BB1_28 Depth=1
	global_load_b32 v5, v[118:119], off
                                        ; implicit-def: $vgpr25
                                        ; implicit-def: $vgpr24
	s_wait_loadcnt 0x0
	v_mul_f32_e32 v5, v20, v5
	s_delay_alu instid0(VALU_DEP_1) | instskip(NEXT) | instid1(VALU_DEP_1)
	v_mul_f32_e32 v66, v22, v5
	v_and_b32_e32 v67, 0x7fffffff, v66
	s_delay_alu instid0(VALU_DEP_1) | instskip(SKIP_2) | instid1(VALU_DEP_3)
	v_lshrrev_b32_e32 v5, 23, v67
	v_cmp_ngt_f32_e64 s19, 0x48000000, |v66|
	v_and_or_b32 v14, v67, s31, 0x800000
	v_add_nc_u32_e32 v68, 0xffffff88, v5
	s_wait_xcnt 0x0
	s_and_saveexec_b32 s8, s19
	s_delay_alu instid0(SALU_CYCLE_1)
	s_xor_b32 s20, exec_lo, s8
	s_cbranch_execz .LBB1_41
; %bb.40:                               ;   in Loop: Header=BB1_28 Depth=1
	v_mul_u64_e32 v[6:7], s[28:29], v[14:15]
	v_mov_b32_e32 v9, v15
	v_cmp_lt_u32_e32 vcc_lo, 63, v68
	v_mov_b32_e32 v75, v15
	v_cndmask_b32_e64 v5, 0, 0xffffffc0, vcc_lo
	s_delay_alu instid0(VALU_DEP_1) | instskip(NEXT) | instid1(VALU_DEP_1)
	v_add_nc_u32_e32 v5, v5, v68
	v_cmp_lt_u32_e64 s8, 31, v5
	v_mov_b32_e32 v8, v7
	s_delay_alu instid0(VALU_DEP_2) | instskip(NEXT) | instid1(VALU_DEP_2)
	v_cndmask_b32_e64 v7, 0, 0xffffffe0, s8
	v_mad_nc_u64_u32 v[8:9], 0x3c439041, v14, v[8:9]
	v_mov_b32_e32 v11, v15
	s_delay_alu instid0(VALU_DEP_3) | instskip(NEXT) | instid1(VALU_DEP_1)
	v_add_nc_u32_e32 v5, v7, v5
	v_cmp_lt_u32_e64 s9, 31, v5
	s_delay_alu instid0(VALU_DEP_4) | instskip(NEXT) | instid1(VALU_DEP_2)
	v_mov_b32_e32 v10, v9
	v_cndmask_b32_e64 v7, 0, 0xffffffe0, s9
	s_delay_alu instid0(VALU_DEP_2) | instskip(NEXT) | instid1(VALU_DEP_1)
	v_mad_nc_u64_u32 v[10:11], 0xdb629599, v14, v[10:11]
	v_dual_mov_b32 v25, v15 :: v_dual_mov_b32 v24, v11
	s_delay_alu instid0(VALU_DEP_1) | instskip(SKIP_1) | instid1(VALU_DEP_2)
	v_mad_nc_u64_u32 v[24:25], 0xf534ddc0, v14, v[24:25]
	v_mov_b32_e32 v71, v15
	v_dual_add_nc_u32 v5, v7, v5 :: v_dual_cndmask_b32 v7, v24, v8, vcc_lo
	s_delay_alu instid0(VALU_DEP_3) | instskip(NEXT) | instid1(VALU_DEP_1)
	v_mov_b32_e32 v70, v25
	v_mad_nc_u64_u32 v[70:71], 0xfc2757d1, v14, v[70:71]
	s_delay_alu instid0(VALU_DEP_1) | instskip(NEXT) | instid1(VALU_DEP_2)
	v_dual_mov_b32 v73, v15 :: v_dual_mov_b32 v72, v71
	v_cndmask_b32_e32 v31, v70, v10, vcc_lo
	s_delay_alu instid0(VALU_DEP_2) | instskip(NEXT) | instid1(VALU_DEP_1)
	v_mad_nc_u64_u32 v[72:73], 0x4e441529, v14, v[72:73]
	v_mov_b32_e32 v74, v73
	s_delay_alu instid0(VALU_DEP_1) | instskip(NEXT) | instid1(VALU_DEP_3)
	v_mad_nc_u64_u32 v[74:75], 0xa2f9836e, v14, v[74:75]
	v_dual_cndmask_b32 v9, v72, v24 :: v_dual_sub_nc_u32 v24, 32, v5
	s_delay_alu instid0(VALU_DEP_2) | instskip(NEXT) | instid1(VALU_DEP_1)
	v_dual_cndmask_b32 v11, v74, v70, vcc_lo :: v_dual_cndmask_b32 v25, v75, v72, vcc_lo
	v_dual_cndmask_b32 v8, v11, v9, s8 :: v_dual_cndmask_b32 v11, v25, v11, s8
	v_cndmask_b32_e64 v9, v9, v31, s8
	v_cndmask_b32_e64 v25, v31, v7, s8
	s_delay_alu instid0(VALU_DEP_2) | instskip(NEXT) | instid1(VALU_DEP_2)
	v_dual_cndmask_b32 v11, v11, v8, s9 :: v_dual_cndmask_b32 v8, v8, v9, s9
	v_cndmask_b32_e64 v9, v9, v25, s9
	s_delay_alu instid0(VALU_DEP_2) | instskip(SKIP_2) | instid1(VALU_DEP_4)
	v_alignbit_b32 v31, v11, v8, v24
	v_cndmask_b32_e32 v6, v10, v6, vcc_lo
	v_cmp_eq_u32_e32 vcc_lo, 0, v5
	v_alignbit_b32 v10, v8, v9, v24
	s_delay_alu instid0(VALU_DEP_4) | instskip(NEXT) | instid1(VALU_DEP_2)
	v_cndmask_b32_e32 v5, v31, v11, vcc_lo
	v_dual_cndmask_b32 v6, v7, v6, s8 :: v_dual_cndmask_b32 v7, v10, v8, vcc_lo
	s_delay_alu instid0(VALU_DEP_2) | instskip(NEXT) | instid1(VALU_DEP_2)
	v_bfe_u32 v8, v5, 29, 1
	v_cndmask_b32_e64 v6, v25, v6, s9
	s_delay_alu instid0(VALU_DEP_3) | instskip(NEXT) | instid1(VALU_DEP_3)
	v_alignbit_b32 v10, v5, v7, 30
	v_sub_nc_u32_e32 v11, 0, v8
	s_delay_alu instid0(VALU_DEP_3) | instskip(NEXT) | instid1(VALU_DEP_1)
	v_alignbit_b32 v24, v9, v6, v24
	v_dual_cndmask_b32 v9, v24, v9, vcc_lo :: v_dual_bitop2_b32 v10, v10, v11 bitop3:0x14
	s_delay_alu instid0(VALU_DEP_1) | instskip(NEXT) | instid1(VALU_DEP_2)
	v_clz_i32_u32_e32 v24, v10
	v_alignbit_b32 v7, v7, v9, 30
	v_alignbit_b32 v6, v9, v6, 30
	s_delay_alu instid0(VALU_DEP_3) | instskip(NEXT) | instid1(VALU_DEP_3)
	v_min_u32_e32 v24, 32, v24
	v_xor_b32_e32 v7, v7, v11
	s_delay_alu instid0(VALU_DEP_3) | instskip(NEXT) | instid1(VALU_DEP_3)
	v_dual_lshrrev_b32 v11, 29, v5 :: v_dual_bitop2_b32 v6, v6, v11 bitop3:0x14
	v_dual_lshrrev_b32 v5, 30, v5 :: v_dual_sub_nc_u32 v9, 31, v24
	v_lshlrev_b32_e32 v25, 23, v24
	s_delay_alu instid0(VALU_DEP_2) | instskip(NEXT) | instid1(VALU_DEP_4)
	v_alignbit_b32 v10, v10, v7, v9
	v_alignbit_b32 v6, v7, v6, v9
	v_lshlrev_b32_e32 v7, 31, v11
	s_delay_alu instid0(VALU_DEP_2) | instskip(NEXT) | instid1(VALU_DEP_2)
	v_alignbit_b32 v9, v10, v6, 9
	v_dual_lshrrev_b32 v10, 9, v10 :: v_dual_bitop2_b32 v11, 0.5, v7 bitop3:0x54
	v_or_b32_e32 v7, 0x33000000, v7
	s_delay_alu instid0(VALU_DEP_3) | instskip(NEXT) | instid1(VALU_DEP_3)
	v_clz_i32_u32_e32 v31, v9
	v_sub_nc_u32_e32 v11, v11, v25
	s_delay_alu instid0(VALU_DEP_2) | instskip(NEXT) | instid1(VALU_DEP_1)
	v_min_u32_e32 v25, 32, v31
	v_add_lshl_u32 v24, v25, v24, 23
	s_delay_alu instid0(VALU_DEP_3) | instskip(SKIP_1) | instid1(VALU_DEP_3)
	v_or_b32_e32 v10, v10, v11
	v_not_b32_e32 v11, v25
	v_dual_add_nc_u32 v25, v8, v5 :: v_dual_sub_nc_u32 v7, v7, v24
	s_delay_alu instid0(VALU_DEP_3) | instskip(NEXT) | instid1(VALU_DEP_3)
	v_mul_f32_e32 v31, 0x3fc90fda, v10
	v_alignbit_b32 v6, v9, v6, v11
	s_delay_alu instid0(VALU_DEP_2) | instskip(NEXT) | instid1(VALU_DEP_2)
	v_fma_f32 v9, 0x3fc90fda, v10, -v31
	v_lshrrev_b32_e32 v6, 9, v6
	s_delay_alu instid0(VALU_DEP_2) | instskip(NEXT) | instid1(VALU_DEP_2)
	v_fmac_f32_e32 v9, 0x33a22168, v10
	v_or_b32_e32 v6, v7, v6
	s_delay_alu instid0(VALU_DEP_1) | instskip(NEXT) | instid1(VALU_DEP_1)
	v_fmac_f32_e32 v9, 0x3fc90fda, v6
	v_add_f32_e32 v24, v31, v9
.LBB1_41:                               ;   in Loop: Header=BB1_28 Depth=1
	s_or_saveexec_b32 s8, s20
	v_mul_f32_e64 v5, 0x3f22f983, |v66|
	s_delay_alu instid0(VALU_DEP_1)
	v_rndne_f32_e32 v71, v5
	s_xor_b32 exec_lo, exec_lo, s8
; %bb.42:                               ;   in Loop: Header=BB1_28 Depth=1
	s_delay_alu instid0(VALU_DEP_1) | instskip(SKIP_1) | instid1(VALU_DEP_2)
	v_fma_f32 v24, 0xbfc90fda, v71, |v66|
	v_cvt_i32_f32_e32 v25, v71
	v_fmac_f32_e32 v24, 0xb3a22168, v71
	s_delay_alu instid0(VALU_DEP_1)
	v_fmac_f32_e32 v24, 0xa7c234c4, v71
; %bb.43:                               ;   in Loop: Header=BB1_28 Depth=1
	s_or_b32 exec_lo, exec_lo, s8
                                        ; implicit-def: $vgpr70
                                        ; implicit-def: $vgpr69
	s_and_saveexec_b32 s8, s19
	s_delay_alu instid0(SALU_CYCLE_1)
	s_xor_b32 s19, exec_lo, s8
	s_cbranch_execz .LBB1_45
; %bb.44:                               ;   in Loop: Header=BB1_28 Depth=1
	v_mul_u64_e32 v[6:7], s[28:29], v[14:15]
	v_mov_b32_e32 v9, v15
	v_cmp_lt_u32_e32 vcc_lo, 63, v68
	v_mov_b32_e32 v69, v15
	v_cndmask_b32_e64 v5, 0, 0xffffffc0, vcc_lo
	s_delay_alu instid0(VALU_DEP_1) | instskip(NEXT) | instid1(VALU_DEP_1)
	v_add_nc_u32_e32 v5, v5, v68
	v_cmp_lt_u32_e64 s8, 31, v5
	v_mov_b32_e32 v8, v7
	s_delay_alu instid0(VALU_DEP_2) | instskip(NEXT) | instid1(VALU_DEP_2)
	v_cndmask_b32_e64 v7, 0, 0xffffffe0, s8
	v_mad_nc_u64_u32 v[8:9], 0x3c439041, v14, v[8:9]
	s_delay_alu instid0(VALU_DEP_1) | instskip(NEXT) | instid1(VALU_DEP_1)
	v_dual_mov_b32 v11, v15 :: v_dual_mov_b32 v10, v9
	v_mad_nc_u64_u32 v[10:11], 0xdb629599, v14, v[10:11]
	s_delay_alu instid0(VALU_DEP_1) | instskip(NEXT) | instid1(VALU_DEP_1)
	v_dual_mov_b32 v71, v15 :: v_dual_mov_b32 v70, v11
	;; [unrolled: 3-line block ×3, first 2 shown]
                                        ; implicit-def: $vgpr71
	v_mad_nc_u64_u32 v[72:73], 0xfc2757d1, v14, v[72:73]
	s_delay_alu instid0(VALU_DEP_1) | instskip(NEXT) | instid1(VALU_DEP_2)
	v_dual_mov_b32 v75, v15 :: v_dual_mov_b32 v74, v73
	v_cndmask_b32_e32 v31, v72, v10, vcc_lo
	s_delay_alu instid0(VALU_DEP_2) | instskip(NEXT) | instid1(VALU_DEP_1)
	v_mad_nc_u64_u32 v[74:75], 0x4e441529, v14, v[74:75]
	v_dual_mov_b32 v68, v75 :: v_dual_cndmask_b32 v9, v74, v70
	s_delay_alu instid0(VALU_DEP_1) | instskip(NEXT) | instid1(VALU_DEP_1)
	v_mad_nc_u64_u32 v[68:69], 0xa2f9836e, v14, v[68:69]
	v_dual_add_nc_u32 v5, v7, v5 :: v_dual_cndmask_b32 v11, v68, v72, vcc_lo
	s_delay_alu instid0(VALU_DEP_1) | instskip(NEXT) | instid1(VALU_DEP_1)
	v_cmp_lt_u32_e64 s9, 31, v5
	v_cndmask_b32_e64 v7, 0, 0xffffffe0, s9
	s_delay_alu instid0(VALU_DEP_1) | instskip(NEXT) | instid1(VALU_DEP_4)
	v_dual_cndmask_b32 v14, v69, v74 :: v_dual_add_nc_u32 v5, v7, v5
	v_dual_cndmask_b32 v7, v70, v8, vcc_lo :: v_dual_cndmask_b32 v8, v11, v9, s8
	s_delay_alu instid0(VALU_DEP_2) | instskip(NEXT) | instid1(VALU_DEP_3)
	v_cndmask_b32_e64 v11, v14, v11, s8
	v_dual_cndmask_b32 v9, v9, v31, s8 :: v_dual_sub_nc_u32 v14, 32, v5
	s_delay_alu instid0(VALU_DEP_3) | instskip(NEXT) | instid1(VALU_DEP_2)
	v_cndmask_b32_e64 v31, v31, v7, s8
	v_dual_cndmask_b32 v11, v11, v8, s9 :: v_dual_cndmask_b32 v8, v8, v9, s9
	s_delay_alu instid0(VALU_DEP_2) | instskip(NEXT) | instid1(VALU_DEP_2)
	v_cndmask_b32_e64 v9, v9, v31, s9
	v_alignbit_b32 v68, v11, v8, v14
	v_cndmask_b32_e32 v6, v10, v6, vcc_lo
	v_cmp_eq_u32_e32 vcc_lo, 0, v5
	s_delay_alu instid0(VALU_DEP_4) | instskip(NEXT) | instid1(VALU_DEP_3)
	v_alignbit_b32 v10, v8, v9, v14
	v_dual_cndmask_b32 v5, v68, v11, vcc_lo :: v_dual_cndmask_b32 v6, v7, v6, s8
	s_delay_alu instid0(VALU_DEP_2) | instskip(NEXT) | instid1(VALU_DEP_2)
	v_cndmask_b32_e32 v7, v10, v8, vcc_lo
	v_bfe_u32 v8, v5, 29, 1
	s_delay_alu instid0(VALU_DEP_3) | instskip(NEXT) | instid1(VALU_DEP_3)
	v_cndmask_b32_e64 v6, v31, v6, s9
	v_alignbit_b32 v10, v5, v7, 30
	s_delay_alu instid0(VALU_DEP_3) | instskip(NEXT) | instid1(VALU_DEP_3)
	v_sub_nc_u32_e32 v11, 0, v8
	v_alignbit_b32 v14, v9, v6, v14
	s_delay_alu instid0(VALU_DEP_2) | instskip(NEXT) | instid1(VALU_DEP_2)
	v_xor_b32_e32 v10, v10, v11
	v_cndmask_b32_e32 v9, v14, v9, vcc_lo
	s_delay_alu instid0(VALU_DEP_2) | instskip(NEXT) | instid1(VALU_DEP_2)
	v_clz_i32_u32_e32 v14, v10
	v_alignbit_b32 v7, v7, v9, 30
	s_delay_alu instid0(VALU_DEP_2) | instskip(NEXT) | instid1(VALU_DEP_2)
	v_min_u32_e32 v14, 32, v14
	v_xor_b32_e32 v7, v7, v11
	v_alignbit_b32 v6, v9, v6, 30
	s_delay_alu instid0(VALU_DEP_3) | instskip(NEXT) | instid1(VALU_DEP_2)
	v_dual_sub_nc_u32 v9, 31, v14 :: v_dual_lshlrev_b32 v31, 23, v14
	v_dual_lshrrev_b32 v11, 29, v5 :: v_dual_bitop2_b32 v6, v6, v11 bitop3:0x14
	v_lshrrev_b32_e32 v5, 30, v5
	s_delay_alu instid0(VALU_DEP_3) | instskip(NEXT) | instid1(VALU_DEP_3)
	v_alignbit_b32 v10, v10, v7, v9
	v_alignbit_b32 v6, v7, v6, v9
	s_delay_alu instid0(VALU_DEP_3) | instskip(NEXT) | instid1(VALU_DEP_2)
	v_dual_lshlrev_b32 v7, 31, v11 :: v_dual_add_nc_u32 v70, v8, v5
	v_alignbit_b32 v9, v10, v6, 9
	s_delay_alu instid0(VALU_DEP_2) | instskip(SKIP_1) | instid1(VALU_DEP_3)
	v_dual_lshrrev_b32 v10, 9, v10 :: v_dual_bitop2_b32 v11, 0.5, v7 bitop3:0x54
	v_or_b32_e32 v7, 0x33000000, v7
	v_clz_i32_u32_e32 v68, v9
	s_delay_alu instid0(VALU_DEP_3) | instskip(NEXT) | instid1(VALU_DEP_2)
	v_sub_nc_u32_e32 v11, v11, v31
	v_min_u32_e32 v31, 32, v68
	s_delay_alu instid0(VALU_DEP_1) | instskip(NEXT) | instid1(VALU_DEP_3)
	v_add_lshl_u32 v14, v31, v14, 23
	v_or_b32_e32 v10, v10, v11
	v_not_b32_e32 v11, v31
	s_delay_alu instid0(VALU_DEP_3) | instskip(NEXT) | instid1(VALU_DEP_3)
	v_sub_nc_u32_e32 v7, v7, v14
	v_mul_f32_e32 v68, 0x3fc90fda, v10
	s_delay_alu instid0(VALU_DEP_3) | instskip(NEXT) | instid1(VALU_DEP_2)
	v_alignbit_b32 v6, v9, v6, v11
	v_fma_f32 v9, 0x3fc90fda, v10, -v68
	s_delay_alu instid0(VALU_DEP_2) | instskip(NEXT) | instid1(VALU_DEP_2)
	v_lshrrev_b32_e32 v6, 9, v6
	v_fmac_f32_e32 v9, 0x33a22168, v10
	s_delay_alu instid0(VALU_DEP_2) | instskip(NEXT) | instid1(VALU_DEP_1)
	v_or_b32_e32 v6, v7, v6
	v_fmac_f32_e32 v9, 0x3fc90fda, v6
	s_delay_alu instid0(VALU_DEP_1)
	v_add_f32_e32 v69, v68, v9
	s_and_not1_saveexec_b32 s8, s19
	s_cbranch_execnz .LBB1_46
	s_branch .LBB1_47
.LBB1_45:                               ;   in Loop: Header=BB1_28 Depth=1
	s_and_not1_saveexec_b32 s8, s19
.LBB1_46:                               ;   in Loop: Header=BB1_28 Depth=1
	v_fma_f32 v69, 0xbfc90fda, v71, |v66|
	v_cvt_i32_f32_e32 v70, v71
	s_delay_alu instid0(VALU_DEP_2) | instskip(NEXT) | instid1(VALU_DEP_1)
	v_fmac_f32_e32 v69, 0xb3a22168, v71
	v_fmac_f32_e32 v69, 0xa7c234c4, v71
.LBB1_47:                               ;   in Loop: Header=BB1_28 Depth=1
	s_or_b32 exec_lo, exec_lo, s8
	v_dual_mul_f32 v5, v66, v66 :: v_dual_mul_f32 v7, v24, v24
	s_delay_alu instid0(VALU_DEP_2) | instskip(SKIP_1) | instid1(VALU_DEP_3)
	v_mul_f32_e32 v10, v69, v69
	v_dual_lshlrev_b32 v9, 30, v25 :: v_dual_bitop2_b32 v8, 1, v25 bitop3:0x40
	v_cmp_gt_f32_e32 vcc_lo, 0x800000, v5
	s_delay_alu instid0(VALU_DEP_4) | instskip(NEXT) | instid1(VALU_DEP_3)
	v_fmaak_f32 v25, s30, v7, 0x3c0881c4
	v_cmp_eq_u32_e64 s8, 0, v8
	v_cndmask_b32_e64 v6, 0, 32, vcc_lo
	s_delay_alu instid0(VALU_DEP_3) | instskip(SKIP_1) | instid1(VALU_DEP_3)
	v_fmaak_f32 v25, v7, v25, 0xbe2aaa9d
	v_cndmask_b32_e64 v8, 0, 0x411a209b, vcc_lo
	v_ldexp_f32 v5, v5, v6
	v_and_b32_e32 v6, 1, v70
	v_dual_fmaak_f32 v31, s34, v7, 0xbab64f3b :: v_dual_fmaak_f32 v68, s34, v10, 0xbab64f3b
	v_xor_b32_e32 v14, v67, v66
	s_delay_alu instid0(VALU_DEP_4) | instskip(SKIP_1) | instid1(VALU_DEP_3)
	v_log_f32_e32 v5, v5
	v_lshlrev_b32_e32 v11, 30, v70
	v_dual_fmaak_f32 v31, v7, v31, 0x3d2aabf7 :: v_dual_fmaak_f32 v68, v10, v68, 0x3d2aabf7
	v_mul_f32_e32 v25, v7, v25
	s_delay_alu instid0(VALU_DEP_2) | instskip(NEXT) | instid1(VALU_DEP_2)
	v_dual_fmaak_f32 v31, v7, v31, 0xbf000004 :: v_dual_fmaak_f32 v68, v10, v68, 0xbf000004
	v_dual_fmaak_f32 v67, s30, v10, 0x3c0881c4 :: v_dual_fmac_f32 v24, v24, v25
	s_delay_alu instid0(TRANS32_DEP_1) | instskip(NEXT) | instid1(VALU_DEP_3)
	v_mul_f32_e32 v70, 0x3e9a209a, v5
	v_fma_f32 v7, v7, v31, 1.0
	v_and_b32_e32 v11, 0x80000000, v11
	s_delay_alu instid0(VALU_DEP_4) | instskip(SKIP_2) | instid1(VALU_DEP_3)
	v_fmaak_f32 v67, v10, v67, 0xbe2aaa9d
	v_cmp_gt_f32_e64 vcc_lo, 0x7f800000, |v5|
	v_fma_f32 v70, 0x3e9a209a, v5, -v70
	v_mul_f32_e32 v67, v10, v67
	v_fma_f32 v10, v10, v68, 1.0
	s_delay_alu instid0(VALU_DEP_2) | instskip(SKIP_2) | instid1(VALU_DEP_3)
	v_dual_fmac_f32 v70, 0x3284fbcf, v5 :: v_dual_fmac_f32 v69, v69, v67
	v_cndmask_b32_e64 v7, -v24, v7, s8
	v_cmp_eq_u32_e64 s8, 0, v6
	v_fmac_f32_e32 v70, 0x3e9a209a, v5
	s_delay_alu instid0(VALU_DEP_2) | instskip(NEXT) | instid1(VALU_DEP_4)
	v_cndmask_b32_e64 v6, v10, v69, s8
	v_bitop3_b32 v7, v9, v7, 0x80000000 bitop3:0x6c
	s_delay_alu instid0(VALU_DEP_3) | instskip(SKIP_1) | instid1(VALU_DEP_4)
	v_cndmask_b32_e32 v5, v5, v70, vcc_lo
	v_cmp_class_f32_e64 vcc_lo, v66, 0x1f8
	v_xor3_b32 v6, v14, v11, v6
	s_delay_alu instid0(VALU_DEP_3) | instskip(SKIP_1) | instid1(VALU_DEP_1)
	v_sub_f32_e32 v5, v5, v8
	v_cndmask_b32_e32 v7, 0x7fc00000, v7, vcc_lo
	v_dual_mul_f32 v6, 0x40490fdb, v6 :: v_dual_add_f32 v5, v5, v7
	s_delay_alu instid0(VALU_DEP_1) | instskip(NEXT) | instid1(VALU_DEP_1)
	v_dual_cndmask_b32 v6, 0x7fc00000, v6 :: v_dual_mul_f32 v67, v19, v5
	v_sub_f32_e32 v66, v5, v6
.LBB1_48:                               ;   in Loop: Header=BB1_28 Depth=1
	s_or_b32 exec_lo, exec_lo, s18
.LBB1_49:                               ;   in Loop: Header=BB1_28 Depth=1
	s_and_not1_saveexec_b32 s17, s17
	s_cbranch_execz .LBB1_55
; %bb.50:                               ;   in Loop: Header=BB1_28 Depth=1
	v_mul_f32_e32 v24, v20, v22
                                        ; implicit-def: $vgpr25
                                        ; implicit-def: $vgpr10
	s_mov_b32 s9, exec_lo
	s_delay_alu instid0(VALU_DEP_1)
	v_cmpx_ngt_f32_e64 0x48000000, |v24|
	s_xor_b32 s18, exec_lo, s9
	s_cbranch_execz .LBB1_52
; %bb.51:                               ;   in Loop: Header=BB1_28 Depth=1
	v_and_b32_e32 v5, 0x7fffffff, v24
	v_mov_b32_e32 v71, v15
	s_delay_alu instid0(VALU_DEP_2) | instskip(SKIP_1) | instid1(VALU_DEP_2)
	v_and_or_b32 v14, v5, s31, 0x800000
	v_lshrrev_b32_e32 v5, 23, v5
	v_mul_u64_e32 v[6:7], s[28:29], v[14:15]
	v_mov_b32_e32 v9, v15
	s_delay_alu instid0(VALU_DEP_3) | instskip(NEXT) | instid1(VALU_DEP_1)
	v_add_nc_u32_e32 v5, 0xffffff88, v5
	v_cmp_lt_u32_e32 vcc_lo, 63, v5
	s_delay_alu instid0(VALU_DEP_4) | instskip(SKIP_1) | instid1(VALU_DEP_2)
	v_mov_b32_e32 v8, v7
	v_cndmask_b32_e64 v7, 0, 0xffffffc0, vcc_lo
	v_mad_nc_u64_u32 v[8:9], 0x3c439041, v14, v[8:9]
	s_delay_alu instid0(VALU_DEP_1) | instskip(NEXT) | instid1(VALU_DEP_1)
	v_dual_mov_b32 v11, v15 :: v_dual_mov_b32 v10, v9
	v_mad_nc_u64_u32 v[10:11], 0xdb629599, v14, v[10:11]
	s_wait_loadcnt 0x0
	s_delay_alu instid0(VALU_DEP_1) | instskip(NEXT) | instid1(VALU_DEP_2)
	v_dual_mov_b32 v67, v15 :: v_dual_mov_b32 v66, v11
	v_cndmask_b32_e32 v6, v10, v6, vcc_lo
	s_delay_alu instid0(VALU_DEP_2) | instskip(NEXT) | instid1(VALU_DEP_1)
	v_mad_nc_u64_u32 v[66:67], 0xf534ddc0, v14, v[66:67]
	v_dual_mov_b32 v69, v15 :: v_dual_mov_b32 v68, v67
	s_delay_alu instid0(VALU_DEP_1) | instskip(NEXT) | instid1(VALU_DEP_1)
	v_mad_nc_u64_u32 v[68:69], 0xfc2757d1, v14, v[68:69]
	v_dual_mov_b32 v70, v69 :: v_dual_cndmask_b32 v25, v68, v10
	s_delay_alu instid0(VALU_DEP_1) | instskip(SKIP_1) | instid1(VALU_DEP_2)
	v_mad_nc_u64_u32 v[70:71], 0x4e441529, v14, v[70:71]
	v_add_nc_u32_e32 v5, v7, v5
	v_dual_mov_b32 v73, v15 :: v_dual_mov_b32 v72, v71
	s_delay_alu instid0(VALU_DEP_3) | instskip(NEXT) | instid1(VALU_DEP_3)
	v_cndmask_b32_e32 v9, v70, v66, vcc_lo
	v_cmp_lt_u32_e64 s8, 31, v5
	s_delay_alu instid0(VALU_DEP_3) | instskip(NEXT) | instid1(VALU_DEP_2)
	v_mad_nc_u64_u32 v[72:73], 0xa2f9836e, v14, v[72:73]
	v_cndmask_b32_e64 v7, 0, 0xffffffe0, s8
	s_delay_alu instid0(VALU_DEP_1) | instskip(NEXT) | instid1(VALU_DEP_1)
	v_dual_add_nc_u32 v5, v7, v5 :: v_dual_cndmask_b32 v11, v72, v68, vcc_lo
	v_cmp_lt_u32_e64 s9, 31, v5
	s_delay_alu instid0(VALU_DEP_1) | instskip(NEXT) | instid1(VALU_DEP_1)
	v_cndmask_b32_e64 v7, 0, 0xffffffe0, s9
	v_dual_cndmask_b32 v14, v73, v70 :: v_dual_add_nc_u32 v5, v7, v5
	s_delay_alu instid0(VALU_DEP_4) | instskip(NEXT) | instid1(VALU_DEP_2)
	v_dual_cndmask_b32 v7, v66, v8, vcc_lo :: v_dual_cndmask_b32 v8, v11, v9, s8
	v_dual_cndmask_b32 v11, v14, v11, s8 :: v_dual_cndmask_b32 v9, v9, v25, s8
	s_delay_alu instid0(VALU_DEP_2) | instskip(SKIP_1) | instid1(VALU_DEP_3)
	v_dual_sub_nc_u32 v14, 32, v5 :: v_dual_cndmask_b32 v25, v25, v7, s8
	v_cmp_eq_u32_e32 vcc_lo, 0, v5
	v_dual_cndmask_b32 v11, v11, v8, s9 :: v_dual_cndmask_b32 v8, v8, v9, s9
	s_delay_alu instid0(VALU_DEP_1) | instskip(NEXT) | instid1(VALU_DEP_1)
	v_alignbit_b32 v31, v11, v8, v14
	v_dual_cndmask_b32 v9, v9, v25, s9 :: v_dual_cndmask_b32 v5, v31, v11, vcc_lo
	s_delay_alu instid0(VALU_DEP_1) | instskip(NEXT) | instid1(VALU_DEP_1)
	v_alignbit_b32 v10, v8, v9, v14
	v_dual_cndmask_b32 v6, v7, v6, s8 :: v_dual_cndmask_b32 v7, v10, v8, vcc_lo
	s_delay_alu instid0(VALU_DEP_3) | instskip(NEXT) | instid1(VALU_DEP_2)
	v_bfe_u32 v8, v5, 29, 1
	v_cndmask_b32_e64 v6, v25, v6, s9
	s_delay_alu instid0(VALU_DEP_3) | instskip(NEXT) | instid1(VALU_DEP_3)
	v_alignbit_b32 v10, v5, v7, 30
	v_sub_nc_u32_e32 v11, 0, v8
	s_delay_alu instid0(VALU_DEP_3) | instskip(NEXT) | instid1(VALU_DEP_2)
	v_alignbit_b32 v14, v9, v6, v14
	v_xor_b32_e32 v10, v10, v11
	s_delay_alu instid0(VALU_DEP_2) | instskip(NEXT) | instid1(VALU_DEP_2)
	v_cndmask_b32_e32 v9, v14, v9, vcc_lo
	v_clz_i32_u32_e32 v14, v10
	s_delay_alu instid0(VALU_DEP_2) | instskip(NEXT) | instid1(VALU_DEP_2)
	v_alignbit_b32 v7, v7, v9, 30
	v_min_u32_e32 v14, 32, v14
	s_delay_alu instid0(VALU_DEP_2) | instskip(SKIP_1) | instid1(VALU_DEP_3)
	v_xor_b32_e32 v7, v7, v11
	v_alignbit_b32 v6, v9, v6, 30
	v_dual_sub_nc_u32 v9, 31, v14 :: v_dual_lshlrev_b32 v25, 23, v14
	s_delay_alu instid0(VALU_DEP_2) | instskip(SKIP_1) | instid1(VALU_DEP_3)
	v_dual_lshrrev_b32 v11, 29, v5 :: v_dual_bitop2_b32 v6, v6, v11 bitop3:0x14
	v_lshrrev_b32_e32 v5, 30, v5
	v_alignbit_b32 v10, v10, v7, v9
	s_delay_alu instid0(VALU_DEP_3) | instskip(NEXT) | instid1(VALU_DEP_4)
	v_alignbit_b32 v6, v7, v6, v9
	v_lshlrev_b32_e32 v7, 31, v11
	s_delay_alu instid0(VALU_DEP_2) | instskip(NEXT) | instid1(VALU_DEP_2)
	v_alignbit_b32 v9, v10, v6, 9
	v_dual_lshrrev_b32 v10, 9, v10 :: v_dual_bitop2_b32 v11, 0.5, v7 bitop3:0x54
	v_or_b32_e32 v7, 0x33000000, v7
	s_delay_alu instid0(VALU_DEP_3) | instskip(NEXT) | instid1(VALU_DEP_3)
	v_clz_i32_u32_e32 v31, v9
	v_sub_nc_u32_e32 v11, v11, v25
	s_delay_alu instid0(VALU_DEP_2) | instskip(NEXT) | instid1(VALU_DEP_1)
	v_min_u32_e32 v25, 32, v31
	v_add_lshl_u32 v14, v25, v14, 23
	s_delay_alu instid0(VALU_DEP_3) | instskip(SKIP_1) | instid1(VALU_DEP_3)
	v_or_b32_e32 v10, v10, v11
	v_not_b32_e32 v11, v25
	v_dual_add_nc_u32 v25, v8, v5 :: v_dual_sub_nc_u32 v7, v7, v14
	s_delay_alu instid0(VALU_DEP_3) | instskip(NEXT) | instid1(VALU_DEP_3)
	v_mul_f32_e32 v31, 0x3fc90fda, v10
	v_alignbit_b32 v6, v9, v6, v11
	s_delay_alu instid0(VALU_DEP_2) | instskip(NEXT) | instid1(VALU_DEP_2)
	v_fma_f32 v9, 0x3fc90fda, v10, -v31
	v_lshrrev_b32_e32 v6, 9, v6
	s_delay_alu instid0(VALU_DEP_2) | instskip(NEXT) | instid1(VALU_DEP_2)
	v_fmac_f32_e32 v9, 0x33a22168, v10
	v_or_b32_e32 v6, v7, v6
	s_delay_alu instid0(VALU_DEP_1) | instskip(NEXT) | instid1(VALU_DEP_1)
	v_fmac_f32_e32 v9, 0x3fc90fda, v6
	v_add_f32_e32 v10, v31, v9
.LBB1_52:                               ;   in Loop: Header=BB1_28 Depth=1
	s_and_not1_saveexec_b32 s8, s18
; %bb.53:                               ;   in Loop: Header=BB1_28 Depth=1
	v_mul_f32_e64 v5, 0x3f22f983, |v24|
	s_delay_alu instid0(VALU_DEP_1) | instskip(NEXT) | instid1(VALU_DEP_1)
	v_rndne_f32_e32 v5, v5
	v_fma_f32 v10, 0xbfc90fda, v5, |v24|
	v_cvt_i32_f32_e32 v25, v5
	s_delay_alu instid0(VALU_DEP_2) | instskip(NEXT) | instid1(VALU_DEP_1)
	v_fmac_f32_e32 v10, 0xb3a22168, v5
	v_fmac_f32_e32 v10, 0xa7c234c4, v5
; %bb.54:                               ;   in Loop: Header=BB1_28 Depth=1
	s_or_b32 exec_lo, exec_lo, s8
	s_delay_alu instid0(VALU_DEP_1) | instskip(SKIP_1) | instid1(VALU_DEP_1)
	v_dual_mul_f32 v5, v10, v10 :: v_dual_bitop2_b32 v8, 1, v25 bitop3:0x40
	s_wait_loadcnt 0x0
	v_dual_mov_b32 v67, v19 :: v_dual_fmaak_f32 v6, s30, v5, 0x3c0881c4
	s_delay_alu instid0(VALU_DEP_2) | instskip(NEXT) | instid1(VALU_DEP_2)
	v_cmp_eq_u32_e32 vcc_lo, 0, v8
	v_fmaak_f32 v6, v5, v6, 0xbe2aaa9d
	s_delay_alu instid0(VALU_DEP_1) | instskip(NEXT) | instid1(VALU_DEP_1)
	v_dual_fmaak_f32 v7, s34, v5, 0xbab64f3b :: v_dual_mul_f32 v6, v5, v6
	v_dual_fmaak_f32 v7, v5, v7, 0x3d2aabf7 :: v_dual_fmac_f32 v10, v10, v6
	s_delay_alu instid0(VALU_DEP_1) | instskip(NEXT) | instid1(VALU_DEP_1)
	v_dual_fmaak_f32 v7, v5, v7, 0xbf000004 :: v_dual_lshlrev_b32 v6, 30, v25
	v_fma_f32 v5, v5, v7, 1.0
	s_delay_alu instid0(VALU_DEP_1) | instskip(SKIP_1) | instid1(VALU_DEP_2)
	v_cndmask_b32_e64 v5, -v10, v5, vcc_lo
	v_cmp_class_f32_e64 vcc_lo, v24, 0x1f8
	v_bitop3_b32 v5, v6, v5, 0x80000000 bitop3:0x6c
	s_delay_alu instid0(VALU_DEP_1) | instskip(NEXT) | instid1(VALU_DEP_1)
	v_cndmask_b32_e32 v5, 0x7fc00000, v5, vcc_lo
	v_mul_f32_e32 v5, v22, v5
	s_delay_alu instid0(VALU_DEP_1) | instskip(SKIP_1) | instid1(VALU_DEP_2)
	v_div_scale_f32 v6, null, v5, v5, 1.0
	v_div_scale_f32 v9, vcc_lo, 1.0, v5, 1.0
	v_rcp_f32_e32 v7, v6
	v_nop
	s_delay_alu instid0(TRANS32_DEP_1) | instskip(NEXT) | instid1(VALU_DEP_1)
	v_fma_f32 v8, -v6, v7, 1.0
	v_fmac_f32_e32 v7, v8, v7
	s_delay_alu instid0(VALU_DEP_1) | instskip(NEXT) | instid1(VALU_DEP_1)
	v_mul_f32_e32 v8, v9, v7
	v_fma_f32 v10, -v6, v8, v9
	s_delay_alu instid0(VALU_DEP_1) | instskip(NEXT) | instid1(VALU_DEP_1)
	v_fmac_f32_e32 v8, v10, v7
	v_fma_f32 v6, -v6, v8, v9
	s_delay_alu instid0(VALU_DEP_1) | instskip(NEXT) | instid1(VALU_DEP_1)
	v_div_fmas_f32 v6, v6, v7, v8
	v_div_fixup_f32 v66, v6, v5, 1.0
.LBB1_55:                               ;   in Loop: Header=BB1_28 Depth=1
	s_or_b32 exec_lo, exec_lo, s17
                                        ; implicit-def: $vgpr10
.LBB1_56:                               ;   in Loop: Header=BB1_28 Depth=1
	s_and_not1_saveexec_b32 s16, s16
	s_cbranch_execz .LBB1_82
; %bb.57:                               ;   in Loop: Header=BB1_28 Depth=1
                                        ; implicit-def: $vgpr67
	s_mov_b32 s8, exec_lo
	v_cmpx_lt_i32_e32 44, v10
	s_xor_b32 s17, exec_lo, s8
	s_cbranch_execz .LBB1_75
; %bb.58:                               ;   in Loop: Header=BB1_28 Depth=1
	global_load_b32 v5, v[118:119], off
                                        ; implicit-def: $vgpr69
                                        ; implicit-def: $vgpr68
	s_wait_loadcnt 0x0
	v_mul_f32_e32 v5, v20, v5
	s_delay_alu instid0(VALU_DEP_1) | instskip(NEXT) | instid1(VALU_DEP_1)
	v_mul_f32_e32 v66, v22, v5
	v_and_b32_e32 v67, 0x7fffffff, v66
	s_delay_alu instid0(VALU_DEP_1) | instskip(SKIP_2) | instid1(VALU_DEP_3)
	v_lshrrev_b32_e32 v5, 23, v67
	v_cmp_ngt_f32_e64 s18, 0x48000000, |v66|
	v_and_or_b32 v14, v67, s31, 0x800000
	v_add_nc_u32_e32 v70, 0xffffff88, v5
	s_wait_xcnt 0x0
	s_and_saveexec_b32 s8, s18
	s_delay_alu instid0(SALU_CYCLE_1)
	s_xor_b32 s19, exec_lo, s8
	s_cbranch_execz .LBB1_60
; %bb.59:                               ;   in Loop: Header=BB1_28 Depth=1
	v_mul_u64_e32 v[6:7], s[28:29], v[14:15]
	v_mov_b32_e32 v9, v15
	v_cmp_lt_u32_e32 vcc_lo, 63, v70
	v_mov_b32_e32 v75, v15
	v_cndmask_b32_e64 v5, 0, 0xffffffc0, vcc_lo
	s_delay_alu instid0(VALU_DEP_1) | instskip(NEXT) | instid1(VALU_DEP_1)
	v_add_nc_u32_e32 v5, v5, v70
	v_cmp_lt_u32_e64 s8, 31, v5
	v_mov_b32_e32 v8, v7
	s_delay_alu instid0(VALU_DEP_2) | instskip(NEXT) | instid1(VALU_DEP_2)
	v_cndmask_b32_e64 v7, 0, 0xffffffe0, s8
	v_mad_nc_u64_u32 v[8:9], 0x3c439041, v14, v[8:9]
	v_mov_b32_e32 v11, v15
	s_delay_alu instid0(VALU_DEP_3) | instskip(NEXT) | instid1(VALU_DEP_1)
	v_add_nc_u32_e32 v5, v7, v5
	v_cmp_lt_u32_e64 s9, 31, v5
	s_delay_alu instid0(VALU_DEP_4) | instskip(NEXT) | instid1(VALU_DEP_2)
	v_mov_b32_e32 v10, v9
	v_cndmask_b32_e64 v7, 0, 0xffffffe0, s9
	s_delay_alu instid0(VALU_DEP_2) | instskip(SKIP_1) | instid1(VALU_DEP_3)
	v_mad_nc_u64_u32 v[10:11], 0xdb629599, v14, v[10:11]
	v_mov_b32_e32 v25, v15
	v_add_nc_u32_e32 v5, v7, v5
	s_delay_alu instid0(VALU_DEP_3) | instskip(NEXT) | instid1(VALU_DEP_1)
	v_mov_b32_e32 v24, v11
	v_mad_nc_u64_u32 v[24:25], 0xf534ddc0, v14, v[24:25]
	s_delay_alu instid0(VALU_DEP_1) | instskip(NEXT) | instid1(VALU_DEP_1)
	v_dual_mov_b32 v69, v15 :: v_dual_mov_b32 v68, v25
	v_mad_nc_u64_u32 v[68:69], 0xfc2757d1, v14, v[68:69]
	s_delay_alu instid0(VALU_DEP_1) | instskip(NEXT) | instid1(VALU_DEP_2)
	v_dual_mov_b32 v73, v15 :: v_dual_mov_b32 v72, v69
	v_cndmask_b32_e32 v31, v68, v10, vcc_lo
	s_delay_alu instid0(VALU_DEP_2) | instskip(NEXT) | instid1(VALU_DEP_1)
	v_mad_nc_u64_u32 v[72:73], 0x4e441529, v14, v[72:73]
	v_dual_mov_b32 v74, v73 :: v_dual_cndmask_b32 v9, v72, v24
	s_delay_alu instid0(VALU_DEP_1) | instskip(NEXT) | instid1(VALU_DEP_1)
	v_mad_nc_u64_u32 v[74:75], 0xa2f9836e, v14, v[74:75]
	v_cndmask_b32_e32 v11, v74, v68, vcc_lo
	s_delay_alu instid0(VALU_DEP_2) | instskip(SKIP_1) | instid1(VALU_DEP_3)
	v_cndmask_b32_e32 v25, v75, v72, vcc_lo
	v_dual_cndmask_b32 v7, v24, v8 :: v_dual_sub_nc_u32 v24, 32, v5
	v_dual_cndmask_b32 v8, v11, v9, s8 :: v_dual_cndmask_b32 v9, v9, v31, s8
	s_delay_alu instid0(VALU_DEP_3) | instskip(NEXT) | instid1(VALU_DEP_3)
	v_cndmask_b32_e64 v11, v25, v11, s8
	v_cndmask_b32_e64 v25, v31, v7, s8
	s_delay_alu instid0(VALU_DEP_2) | instskip(NEXT) | instid1(VALU_DEP_2)
	v_dual_cndmask_b32 v11, v11, v8, s9 :: v_dual_cndmask_b32 v8, v8, v9, s9
	v_cndmask_b32_e64 v9, v9, v25, s9
	s_delay_alu instid0(VALU_DEP_2) | instskip(SKIP_2) | instid1(VALU_DEP_4)
	v_alignbit_b32 v31, v11, v8, v24
	v_cndmask_b32_e32 v6, v10, v6, vcc_lo
	v_cmp_eq_u32_e32 vcc_lo, 0, v5
	v_alignbit_b32 v10, v8, v9, v24
	s_delay_alu instid0(VALU_DEP_4) | instskip(NEXT) | instid1(VALU_DEP_2)
	v_cndmask_b32_e32 v5, v31, v11, vcc_lo
	v_dual_cndmask_b32 v6, v7, v6, s8 :: v_dual_cndmask_b32 v7, v10, v8, vcc_lo
	s_delay_alu instid0(VALU_DEP_2) | instskip(NEXT) | instid1(VALU_DEP_2)
	v_bfe_u32 v8, v5, 29, 1
	v_cndmask_b32_e64 v6, v25, v6, s9
	s_delay_alu instid0(VALU_DEP_3) | instskip(NEXT) | instid1(VALU_DEP_3)
	v_alignbit_b32 v10, v5, v7, 30
	v_sub_nc_u32_e32 v11, 0, v8
	s_delay_alu instid0(VALU_DEP_3) | instskip(NEXT) | instid1(VALU_DEP_1)
	v_alignbit_b32 v24, v9, v6, v24
	v_dual_cndmask_b32 v9, v24, v9, vcc_lo :: v_dual_bitop2_b32 v10, v10, v11 bitop3:0x14
	s_delay_alu instid0(VALU_DEP_1) | instskip(NEXT) | instid1(VALU_DEP_2)
	v_clz_i32_u32_e32 v24, v10
	v_alignbit_b32 v7, v7, v9, 30
	v_alignbit_b32 v6, v9, v6, 30
	s_delay_alu instid0(VALU_DEP_3) | instskip(NEXT) | instid1(VALU_DEP_3)
	v_min_u32_e32 v24, 32, v24
	v_xor_b32_e32 v7, v7, v11
	s_delay_alu instid0(VALU_DEP_3) | instskip(NEXT) | instid1(VALU_DEP_3)
	v_dual_lshrrev_b32 v11, 29, v5 :: v_dual_bitop2_b32 v6, v6, v11 bitop3:0x14
	v_dual_lshrrev_b32 v5, 30, v5 :: v_dual_sub_nc_u32 v9, 31, v24
	s_delay_alu instid0(VALU_DEP_1) | instskip(NEXT) | instid1(VALU_DEP_2)
	v_dual_lshlrev_b32 v25, 23, v24 :: v_dual_add_nc_u32 v69, v8, v5
	v_alignbit_b32 v10, v10, v7, v9
	s_delay_alu instid0(VALU_DEP_4) | instskip(SKIP_1) | instid1(VALU_DEP_2)
	v_alignbit_b32 v6, v7, v6, v9
	v_lshlrev_b32_e32 v7, 31, v11
	v_alignbit_b32 v9, v10, v6, 9
	s_delay_alu instid0(VALU_DEP_2) | instskip(SKIP_1) | instid1(VALU_DEP_3)
	v_dual_lshrrev_b32 v10, 9, v10 :: v_dual_bitop2_b32 v11, 0.5, v7 bitop3:0x54
	v_or_b32_e32 v7, 0x33000000, v7
	v_clz_i32_u32_e32 v31, v9
	s_delay_alu instid0(VALU_DEP_3) | instskip(NEXT) | instid1(VALU_DEP_2)
	v_sub_nc_u32_e32 v11, v11, v25
	v_min_u32_e32 v25, 32, v31
	s_delay_alu instid0(VALU_DEP_1) | instskip(NEXT) | instid1(VALU_DEP_3)
	v_add_lshl_u32 v24, v25, v24, 23
	v_or_b32_e32 v10, v10, v11
	v_not_b32_e32 v11, v25
	s_delay_alu instid0(VALU_DEP_3) | instskip(NEXT) | instid1(VALU_DEP_3)
	v_sub_nc_u32_e32 v7, v7, v24
	v_mul_f32_e32 v31, 0x3fc90fda, v10
	s_delay_alu instid0(VALU_DEP_3) | instskip(NEXT) | instid1(VALU_DEP_2)
	v_alignbit_b32 v6, v9, v6, v11
	v_fma_f32 v9, 0x3fc90fda, v10, -v31
	s_delay_alu instid0(VALU_DEP_2) | instskip(NEXT) | instid1(VALU_DEP_2)
	v_lshrrev_b32_e32 v6, 9, v6
	v_fmac_f32_e32 v9, 0x33a22168, v10
	s_delay_alu instid0(VALU_DEP_2) | instskip(NEXT) | instid1(VALU_DEP_1)
	v_or_b32_e32 v6, v7, v6
	v_fmac_f32_e32 v9, 0x3fc90fda, v6
	s_delay_alu instid0(VALU_DEP_1)
	v_add_f32_e32 v68, v31, v9
.LBB1_60:                               ;   in Loop: Header=BB1_28 Depth=1
	s_or_saveexec_b32 s8, s19
	v_mul_f32_e64 v5, 0x3f22f983, |v66|
	s_delay_alu instid0(VALU_DEP_1)
	v_rndne_f32_e32 v24, v5
	s_xor_b32 exec_lo, exec_lo, s8
; %bb.61:                               ;   in Loop: Header=BB1_28 Depth=1
	s_delay_alu instid0(VALU_DEP_1) | instskip(SKIP_1) | instid1(VALU_DEP_2)
	v_fma_f32 v68, 0xbfc90fda, v24, |v66|
	v_cvt_i32_f32_e32 v69, v24
	v_fmac_f32_e32 v68, 0xb3a22168, v24
	s_delay_alu instid0(VALU_DEP_1)
	v_fmac_f32_e32 v68, 0xa7c234c4, v24
; %bb.62:                               ;   in Loop: Header=BB1_28 Depth=1
	s_or_b32 exec_lo, exec_lo, s8
                                        ; implicit-def: $vgpr72
                                        ; implicit-def: $vgpr71
	s_and_saveexec_b32 s8, s18
	s_delay_alu instid0(SALU_CYCLE_1)
	s_xor_b32 s19, exec_lo, s8
	s_cbranch_execz .LBB1_64
; %bb.63:                               ;   in Loop: Header=BB1_28 Depth=1
	v_mul_u64_e32 v[6:7], s[28:29], v[14:15]
	v_mov_b32_e32 v9, v15
	v_cmp_lt_u32_e32 vcc_lo, 63, v70
	v_mov_b32_e32 v79, v15
	v_cndmask_b32_e64 v5, 0, 0xffffffc0, vcc_lo
	s_delay_alu instid0(VALU_DEP_1) | instskip(NEXT) | instid1(VALU_DEP_1)
	v_add_nc_u32_e32 v5, v5, v70
	v_cmp_lt_u32_e64 s8, 31, v5
	v_mov_b32_e32 v8, v7
	s_delay_alu instid0(VALU_DEP_2) | instskip(NEXT) | instid1(VALU_DEP_2)
	v_cndmask_b32_e64 v7, 0, 0xffffffe0, s8
	v_mad_nc_u64_u32 v[8:9], 0x3c439041, v14, v[8:9]
	v_mov_b32_e32 v11, v15
	s_delay_alu instid0(VALU_DEP_3) | instskip(NEXT) | instid1(VALU_DEP_1)
	v_add_nc_u32_e32 v5, v7, v5
	v_cmp_lt_u32_e64 s9, 31, v5
	s_delay_alu instid0(VALU_DEP_4) | instskip(NEXT) | instid1(VALU_DEP_2)
	v_mov_b32_e32 v10, v9
	v_cndmask_b32_e64 v7, 0, 0xffffffe0, s9
	s_delay_alu instid0(VALU_DEP_2) | instskip(NEXT) | instid1(VALU_DEP_1)
	v_mad_nc_u64_u32 v[10:11], 0xdb629599, v14, v[10:11]
	v_dual_mov_b32 v73, v15 :: v_dual_mov_b32 v72, v11
	s_delay_alu instid0(VALU_DEP_1) | instskip(SKIP_1) | instid1(VALU_DEP_2)
	v_mad_nc_u64_u32 v[72:73], 0xf534ddc0, v14, v[72:73]
	v_mov_b32_e32 v75, v15
	v_dual_add_nc_u32 v5, v7, v5 :: v_dual_cndmask_b32 v7, v72, v8, vcc_lo
	s_delay_alu instid0(VALU_DEP_3) | instskip(NEXT) | instid1(VALU_DEP_1)
	v_mov_b32_e32 v74, v73
	v_mad_nc_u64_u32 v[74:75], 0xfc2757d1, v14, v[74:75]
	s_delay_alu instid0(VALU_DEP_1) | instskip(NEXT) | instid1(VALU_DEP_2)
	v_dual_mov_b32 v77, v15 :: v_dual_mov_b32 v76, v75
	v_cndmask_b32_e32 v31, v74, v10, vcc_lo
	s_delay_alu instid0(VALU_DEP_2) | instskip(NEXT) | instid1(VALU_DEP_1)
	v_mad_nc_u64_u32 v[76:77], 0x4e441529, v14, v[76:77]
	v_mov_b32_e32 v78, v77
	s_delay_alu instid0(VALU_DEP_1) | instskip(NEXT) | instid1(VALU_DEP_1)
	v_mad_nc_u64_u32 v[78:79], 0xa2f9836e, v14, v[78:79]
	v_dual_cndmask_b32 v9, v76, v72, vcc_lo :: v_dual_cndmask_b32 v11, v78, v74, vcc_lo
	s_delay_alu instid0(VALU_DEP_2) | instskip(NEXT) | instid1(VALU_DEP_1)
	v_cndmask_b32_e32 v25, v79, v76, vcc_lo
	v_dual_cndmask_b32 v8, v11, v9, s8 :: v_dual_cndmask_b32 v11, v25, v11, s8
	v_dual_cndmask_b32 v9, v9, v31, s8 :: v_dual_sub_nc_u32 v25, 32, v5
	v_cndmask_b32_e64 v31, v31, v7, s8
	s_delay_alu instid0(VALU_DEP_2) | instskip(NEXT) | instid1(VALU_DEP_2)
	v_dual_cndmask_b32 v11, v11, v8, s9 :: v_dual_cndmask_b32 v8, v8, v9, s9
	v_cndmask_b32_e64 v9, v9, v31, s9
	s_delay_alu instid0(VALU_DEP_2) | instskip(SKIP_2) | instid1(VALU_DEP_4)
	v_alignbit_b32 v71, v11, v8, v25
	v_cndmask_b32_e32 v6, v10, v6, vcc_lo
	v_cmp_eq_u32_e32 vcc_lo, 0, v5
	v_alignbit_b32 v10, v8, v9, v25
	s_delay_alu instid0(VALU_DEP_4) | instskip(NEXT) | instid1(VALU_DEP_2)
	v_cndmask_b32_e32 v5, v71, v11, vcc_lo
	v_dual_cndmask_b32 v6, v7, v6, s8 :: v_dual_cndmask_b32 v7, v10, v8, vcc_lo
	s_delay_alu instid0(VALU_DEP_2) | instskip(NEXT) | instid1(VALU_DEP_2)
	v_bfe_u32 v8, v5, 29, 1
	v_cndmask_b32_e64 v6, v31, v6, s9
	s_delay_alu instid0(VALU_DEP_3) | instskip(NEXT) | instid1(VALU_DEP_3)
	v_alignbit_b32 v10, v5, v7, 30
	v_sub_nc_u32_e32 v11, 0, v8
	s_delay_alu instid0(VALU_DEP_3) | instskip(NEXT) | instid1(VALU_DEP_1)
	v_alignbit_b32 v25, v9, v6, v25
	v_dual_cndmask_b32 v9, v25, v9, vcc_lo :: v_dual_bitop2_b32 v10, v10, v11 bitop3:0x14
	s_delay_alu instid0(VALU_DEP_1) | instskip(NEXT) | instid1(VALU_DEP_2)
	v_clz_i32_u32_e32 v25, v10
	v_alignbit_b32 v7, v7, v9, 30
	v_alignbit_b32 v6, v9, v6, 30
	s_delay_alu instid0(VALU_DEP_3) | instskip(NEXT) | instid1(VALU_DEP_3)
	v_min_u32_e32 v25, 32, v25
	v_xor_b32_e32 v7, v7, v11
	s_delay_alu instid0(VALU_DEP_3) | instskip(SKIP_1) | instid1(VALU_DEP_4)
	v_dual_lshrrev_b32 v11, 29, v5 :: v_dual_bitop2_b32 v6, v6, v11 bitop3:0x14
	v_lshrrev_b32_e32 v5, 30, v5
	v_dual_sub_nc_u32 v9, 31, v25 :: v_dual_lshlrev_b32 v31, 23, v25
	s_delay_alu instid0(VALU_DEP_2) | instskip(NEXT) | instid1(VALU_DEP_2)
	v_add_nc_u32_e32 v72, v8, v5
	v_alignbit_b32 v10, v10, v7, v9
	v_alignbit_b32 v6, v7, v6, v9
	v_lshlrev_b32_e32 v7, 31, v11
	s_delay_alu instid0(VALU_DEP_2) | instskip(NEXT) | instid1(VALU_DEP_2)
	v_alignbit_b32 v9, v10, v6, 9
	v_dual_lshrrev_b32 v10, 9, v10 :: v_dual_bitop2_b32 v11, 0.5, v7 bitop3:0x54
	v_or_b32_e32 v7, 0x33000000, v7
	s_delay_alu instid0(VALU_DEP_3) | instskip(NEXT) | instid1(VALU_DEP_3)
	v_clz_i32_u32_e32 v71, v9
	v_sub_nc_u32_e32 v11, v11, v31
	s_delay_alu instid0(VALU_DEP_2) | instskip(NEXT) | instid1(VALU_DEP_1)
	v_min_u32_e32 v31, 32, v71
	v_add_lshl_u32 v25, v31, v25, 23
	s_delay_alu instid0(VALU_DEP_3) | instskip(SKIP_1) | instid1(VALU_DEP_3)
	v_or_b32_e32 v10, v10, v11
	v_not_b32_e32 v11, v31
	v_sub_nc_u32_e32 v7, v7, v25
	s_delay_alu instid0(VALU_DEP_3) | instskip(NEXT) | instid1(VALU_DEP_3)
	v_mul_f32_e32 v71, 0x3fc90fda, v10
	v_alignbit_b32 v6, v9, v6, v11
	s_delay_alu instid0(VALU_DEP_2) | instskip(NEXT) | instid1(VALU_DEP_2)
	v_fma_f32 v9, 0x3fc90fda, v10, -v71
	v_lshrrev_b32_e32 v6, 9, v6
	s_delay_alu instid0(VALU_DEP_2) | instskip(NEXT) | instid1(VALU_DEP_2)
	v_fmac_f32_e32 v9, 0x33a22168, v10
	v_or_b32_e32 v6, v7, v6
	s_delay_alu instid0(VALU_DEP_1) | instskip(NEXT) | instid1(VALU_DEP_1)
	v_fmac_f32_e32 v9, 0x3fc90fda, v6
	v_add_f32_e32 v71, v71, v9
	s_and_not1_saveexec_b32 s8, s19
	s_branch .LBB1_65
.LBB1_64:                               ;   in Loop: Header=BB1_28 Depth=1
	s_and_not1_saveexec_b32 s8, s19
.LBB1_65:                               ;   in Loop: Header=BB1_28 Depth=1
	v_fma_f32 v71, 0xbfc90fda, v24, |v66|
	v_cvt_i32_f32_e32 v72, v24
	s_delay_alu instid0(VALU_DEP_2) | instskip(NEXT) | instid1(VALU_DEP_1)
	v_fmac_f32_e32 v71, 0xb3a22168, v24
	v_fmac_f32_e32 v71, 0xa7c234c4, v24
; %bb.66:                               ;   in Loop: Header=BB1_28 Depth=1
	s_or_b32 exec_lo, exec_lo, s8
                                        ; implicit-def: $vgpr73
                                        ; implicit-def: $vgpr25
	s_and_saveexec_b32 s8, s18
	s_delay_alu instid0(SALU_CYCLE_1)
	s_xor_b32 s19, exec_lo, s8
	s_cbranch_execz .LBB1_68
; %bb.67:                               ;   in Loop: Header=BB1_28 Depth=1
	v_mul_u64_e32 v[6:7], s[28:29], v[14:15]
	v_mov_b32_e32 v9, v15
	v_cmp_lt_u32_e32 vcc_lo, 63, v70
	v_mov_b32_e32 v117, v15
	v_cndmask_b32_e64 v5, 0, 0xffffffc0, vcc_lo
	s_delay_alu instid0(VALU_DEP_1) | instskip(NEXT) | instid1(VALU_DEP_1)
	v_add_nc_u32_e32 v5, v5, v70
	v_cmp_lt_u32_e64 s8, 31, v5
	v_mov_b32_e32 v8, v7
	s_delay_alu instid0(VALU_DEP_2) | instskip(NEXT) | instid1(VALU_DEP_2)
	v_cndmask_b32_e64 v7, 0, 0xffffffe0, s8
	v_mad_nc_u64_u32 v[8:9], 0x3c439041, v14, v[8:9]
	s_delay_alu instid0(VALU_DEP_1) | instskip(NEXT) | instid1(VALU_DEP_1)
	v_dual_mov_b32 v11, v15 :: v_dual_mov_b32 v10, v9
	v_mad_nc_u64_u32 v[10:11], 0xdb629599, v14, v[10:11]
	s_delay_alu instid0(VALU_DEP_1) | instskip(NEXT) | instid1(VALU_DEP_1)
	v_dual_mov_b32 v75, v15 :: v_dual_mov_b32 v74, v11
	;; [unrolled: 3-line block ×3, first 2 shown]
	v_mad_nc_u64_u32 v[76:77], 0xfc2757d1, v14, v[76:77]
	s_delay_alu instid0(VALU_DEP_1) | instskip(NEXT) | instid1(VALU_DEP_2)
	v_dual_mov_b32 v79, v15 :: v_dual_mov_b32 v78, v77
	v_cndmask_b32_e32 v31, v76, v10, vcc_lo
	s_delay_alu instid0(VALU_DEP_2) | instskip(NEXT) | instid1(VALU_DEP_1)
	v_mad_nc_u64_u32 v[78:79], 0x4e441529, v14, v[78:79]
	v_dual_mov_b32 v116, v79 :: v_dual_cndmask_b32 v9, v78, v74
	s_delay_alu instid0(VALU_DEP_1) | instskip(NEXT) | instid1(VALU_DEP_1)
	v_mad_nc_u64_u32 v[116:117], 0xa2f9836e, v14, v[116:117]
	v_dual_add_nc_u32 v5, v7, v5 :: v_dual_cndmask_b32 v11, v116, v76, vcc_lo
	s_delay_alu instid0(VALU_DEP_1) | instskip(NEXT) | instid1(VALU_DEP_1)
	v_cmp_lt_u32_e64 s9, 31, v5
	v_cndmask_b32_e64 v7, 0, 0xffffffe0, s9
	s_delay_alu instid0(VALU_DEP_1) | instskip(NEXT) | instid1(VALU_DEP_4)
	v_dual_cndmask_b32 v25, v117, v78, vcc_lo :: v_dual_add_nc_u32 v5, v7, v5
	v_dual_cndmask_b32 v7, v74, v8, vcc_lo :: v_dual_cndmask_b32 v8, v11, v9, s8
	s_delay_alu instid0(VALU_DEP_2) | instskip(NEXT) | instid1(VALU_DEP_3)
	v_cndmask_b32_e64 v11, v25, v11, s8
	v_dual_cndmask_b32 v9, v9, v31, s8 :: v_dual_sub_nc_u32 v25, 32, v5
	s_delay_alu instid0(VALU_DEP_3) | instskip(NEXT) | instid1(VALU_DEP_2)
	v_cndmask_b32_e64 v31, v31, v7, s8
	v_dual_cndmask_b32 v11, v11, v8, s9 :: v_dual_cndmask_b32 v8, v8, v9, s9
	s_delay_alu instid0(VALU_DEP_2) | instskip(NEXT) | instid1(VALU_DEP_2)
	v_cndmask_b32_e64 v9, v9, v31, s9
	v_alignbit_b32 v73, v11, v8, v25
	v_cndmask_b32_e32 v6, v10, v6, vcc_lo
	v_cmp_eq_u32_e32 vcc_lo, 0, v5
	s_delay_alu instid0(VALU_DEP_4) | instskip(NEXT) | instid1(VALU_DEP_3)
	v_alignbit_b32 v10, v8, v9, v25
	v_dual_cndmask_b32 v5, v73, v11, vcc_lo :: v_dual_cndmask_b32 v6, v7, v6, s8
	s_delay_alu instid0(VALU_DEP_2) | instskip(NEXT) | instid1(VALU_DEP_2)
	v_cndmask_b32_e32 v7, v10, v8, vcc_lo
	v_bfe_u32 v8, v5, 29, 1
	s_delay_alu instid0(VALU_DEP_3) | instskip(NEXT) | instid1(VALU_DEP_3)
	v_cndmask_b32_e64 v6, v31, v6, s9
	v_alignbit_b32 v10, v5, v7, 30
	s_delay_alu instid0(VALU_DEP_3) | instskip(NEXT) | instid1(VALU_DEP_3)
	v_sub_nc_u32_e32 v11, 0, v8
	v_alignbit_b32 v25, v9, v6, v25
	s_delay_alu instid0(VALU_DEP_1) | instskip(NEXT) | instid1(VALU_DEP_1)
	v_dual_cndmask_b32 v9, v25, v9, vcc_lo :: v_dual_bitop2_b32 v10, v10, v11 bitop3:0x14
	v_clz_i32_u32_e32 v25, v10
	s_delay_alu instid0(VALU_DEP_2) | instskip(SKIP_1) | instid1(VALU_DEP_3)
	v_alignbit_b32 v7, v7, v9, 30
	v_alignbit_b32 v6, v9, v6, 30
	v_min_u32_e32 v25, 32, v25
	s_delay_alu instid0(VALU_DEP_3) | instskip(NEXT) | instid1(VALU_DEP_3)
	v_xor_b32_e32 v7, v7, v11
	v_dual_lshrrev_b32 v11, 29, v5 :: v_dual_bitop2_b32 v6, v6, v11 bitop3:0x14
	v_lshrrev_b32_e32 v5, 30, v5
	s_delay_alu instid0(VALU_DEP_4) | instskip(NEXT) | instid1(VALU_DEP_1)
	v_dual_sub_nc_u32 v9, 31, v25 :: v_dual_lshlrev_b32 v31, 23, v25
	v_alignbit_b32 v10, v10, v7, v9
	s_delay_alu instid0(VALU_DEP_4) | instskip(SKIP_1) | instid1(VALU_DEP_2)
	v_alignbit_b32 v6, v7, v6, v9
	v_lshlrev_b32_e32 v7, 31, v11
	v_alignbit_b32 v9, v10, v6, 9
	s_delay_alu instid0(VALU_DEP_2) | instskip(SKIP_1) | instid1(VALU_DEP_3)
	v_dual_lshrrev_b32 v10, 9, v10 :: v_dual_bitop2_b32 v11, 0.5, v7 bitop3:0x54
	v_or_b32_e32 v7, 0x33000000, v7
	v_clz_i32_u32_e32 v73, v9
	s_delay_alu instid0(VALU_DEP_3) | instskip(NEXT) | instid1(VALU_DEP_2)
	v_sub_nc_u32_e32 v11, v11, v31
	v_min_u32_e32 v31, 32, v73
	s_delay_alu instid0(VALU_DEP_1) | instskip(NEXT) | instid1(VALU_DEP_3)
	v_add_lshl_u32 v25, v31, v25, 23
	v_or_b32_e32 v10, v10, v11
	v_not_b32_e32 v11, v31
	s_delay_alu instid0(VALU_DEP_3) | instskip(NEXT) | instid1(VALU_DEP_3)
	v_sub_nc_u32_e32 v7, v7, v25
	v_mul_f32_e32 v73, 0x3fc90fda, v10
	s_delay_alu instid0(VALU_DEP_3) | instskip(NEXT) | instid1(VALU_DEP_2)
	v_alignbit_b32 v6, v9, v6, v11
	v_fma_f32 v9, 0x3fc90fda, v10, -v73
	s_delay_alu instid0(VALU_DEP_2) | instskip(NEXT) | instid1(VALU_DEP_2)
	v_lshrrev_b32_e32 v6, 9, v6
	v_fmac_f32_e32 v9, 0x33a22168, v10
	s_delay_alu instid0(VALU_DEP_2) | instskip(NEXT) | instid1(VALU_DEP_1)
	v_or_b32_e32 v6, v7, v6
	v_fmac_f32_e32 v9, 0x3fc90fda, v6
	s_delay_alu instid0(VALU_DEP_1)
	v_add_f32_e32 v25, v73, v9
	v_add_nc_u32_e32 v73, v8, v5
	s_and_not1_saveexec_b32 s8, s19
	s_branch .LBB1_69
.LBB1_68:                               ;   in Loop: Header=BB1_28 Depth=1
	s_and_not1_saveexec_b32 s8, s19
.LBB1_69:                               ;   in Loop: Header=BB1_28 Depth=1
	v_fma_f32 v25, 0xbfc90fda, v24, |v66|
	v_cvt_i32_f32_e32 v73, v24
	s_delay_alu instid0(VALU_DEP_2) | instskip(NEXT) | instid1(VALU_DEP_1)
	v_fmac_f32_e32 v25, 0xb3a22168, v24
	v_fmac_f32_e32 v25, 0xa7c234c4, v24
; %bb.70:                               ;   in Loop: Header=BB1_28 Depth=1
	s_or_b32 exec_lo, exec_lo, s8
                                        ; implicit-def: $vgpr75
                                        ; implicit-def: $vgpr74
	s_and_saveexec_b32 s8, s18
	s_delay_alu instid0(SALU_CYCLE_1)
	s_xor_b32 s18, exec_lo, s8
	s_cbranch_execz .LBB1_72
; %bb.71:                               ;   in Loop: Header=BB1_28 Depth=1
	v_mul_u64_e32 v[6:7], s[28:29], v[14:15]
	v_mov_b32_e32 v9, v15
	v_cmp_lt_u32_e32 vcc_lo, 63, v70
	v_mov_b32_e32 v117, v15
	v_cndmask_b32_e64 v5, 0, 0xffffffc0, vcc_lo
	s_delay_alu instid0(VALU_DEP_1) | instskip(NEXT) | instid1(VALU_DEP_1)
	v_add_nc_u32_e32 v5, v5, v70
	v_cmp_lt_u32_e64 s8, 31, v5
	v_mov_b32_e32 v8, v7
	s_delay_alu instid0(VALU_DEP_2) | instskip(NEXT) | instid1(VALU_DEP_2)
	v_cndmask_b32_e64 v7, 0, 0xffffffe0, s8
	v_mad_nc_u64_u32 v[8:9], 0x3c439041, v14, v[8:9]
	s_delay_alu instid0(VALU_DEP_1) | instskip(NEXT) | instid1(VALU_DEP_1)
	v_dual_mov_b32 v11, v15 :: v_dual_mov_b32 v10, v9
	v_mad_nc_u64_u32 v[10:11], 0xdb629599, v14, v[10:11]
	s_delay_alu instid0(VALU_DEP_1) | instskip(NEXT) | instid1(VALU_DEP_1)
	v_dual_mov_b32 v75, v15 :: v_dual_mov_b32 v74, v11
	;; [unrolled: 3-line block ×3, first 2 shown]
	v_mad_nc_u64_u32 v[76:77], 0xfc2757d1, v14, v[76:77]
	s_delay_alu instid0(VALU_DEP_1) | instskip(NEXT) | instid1(VALU_DEP_2)
	v_dual_mov_b32 v79, v15 :: v_dual_mov_b32 v78, v77
	v_cndmask_b32_e32 v24, v76, v10, vcc_lo
	s_delay_alu instid0(VALU_DEP_2) | instskip(NEXT) | instid1(VALU_DEP_1)
	v_mad_nc_u64_u32 v[78:79], 0x4e441529, v14, v[78:79]
	v_dual_mov_b32 v116, v79 :: v_dual_cndmask_b32 v9, v78, v74
	s_delay_alu instid0(VALU_DEP_1) | instskip(NEXT) | instid1(VALU_DEP_1)
	v_mad_nc_u64_u32 v[116:117], 0xa2f9836e, v14, v[116:117]
	v_dual_add_nc_u32 v5, v7, v5 :: v_dual_cndmask_b32 v11, v116, v76, vcc_lo
	s_delay_alu instid0(VALU_DEP_1) | instskip(NEXT) | instid1(VALU_DEP_1)
	v_cmp_lt_u32_e64 s9, 31, v5
	v_cndmask_b32_e64 v7, 0, 0xffffffe0, s9
	s_delay_alu instid0(VALU_DEP_1) | instskip(NEXT) | instid1(VALU_DEP_4)
	v_dual_cndmask_b32 v14, v117, v78 :: v_dual_add_nc_u32 v5, v7, v5
	v_dual_cndmask_b32 v7, v74, v8, vcc_lo :: v_dual_cndmask_b32 v8, v11, v9, s8
	s_delay_alu instid0(VALU_DEP_2) | instskip(NEXT) | instid1(VALU_DEP_2)
	v_dual_cndmask_b32 v11, v14, v11, s8 :: v_dual_cndmask_b32 v9, v9, v24, s8
	v_dual_sub_nc_u32 v14, 32, v5 :: v_dual_cndmask_b32 v24, v24, v7, s8
	s_delay_alu instid0(VALU_DEP_2) | instskip(NEXT) | instid1(VALU_DEP_2)
	v_dual_cndmask_b32 v11, v11, v8, s9 :: v_dual_cndmask_b32 v8, v8, v9, s9
	v_cndmask_b32_e64 v9, v9, v24, s9
	s_delay_alu instid0(VALU_DEP_2) | instskip(SKIP_2) | instid1(VALU_DEP_4)
	v_alignbit_b32 v31, v11, v8, v14
	v_cndmask_b32_e32 v6, v10, v6, vcc_lo
	v_cmp_eq_u32_e32 vcc_lo, 0, v5
	v_alignbit_b32 v10, v8, v9, v14
	s_delay_alu instid0(VALU_DEP_4) | instskip(NEXT) | instid1(VALU_DEP_2)
	v_cndmask_b32_e32 v5, v31, v11, vcc_lo
	v_dual_cndmask_b32 v6, v7, v6, s8 :: v_dual_cndmask_b32 v7, v10, v8, vcc_lo
	s_delay_alu instid0(VALU_DEP_2) | instskip(NEXT) | instid1(VALU_DEP_2)
	v_bfe_u32 v8, v5, 29, 1
	v_cndmask_b32_e64 v6, v24, v6, s9
	s_delay_alu instid0(VALU_DEP_3) | instskip(NEXT) | instid1(VALU_DEP_3)
	v_alignbit_b32 v10, v5, v7, 30
	v_sub_nc_u32_e32 v11, 0, v8
	s_delay_alu instid0(VALU_DEP_3) | instskip(NEXT) | instid1(VALU_DEP_2)
	v_alignbit_b32 v14, v9, v6, v14
	v_xor_b32_e32 v10, v10, v11
	s_delay_alu instid0(VALU_DEP_2) | instskip(NEXT) | instid1(VALU_DEP_2)
	v_cndmask_b32_e32 v9, v14, v9, vcc_lo
	v_clz_i32_u32_e32 v14, v10
	s_delay_alu instid0(VALU_DEP_2) | instskip(NEXT) | instid1(VALU_DEP_2)
	v_alignbit_b32 v7, v7, v9, 30
	v_min_u32_e32 v14, 32, v14
	s_delay_alu instid0(VALU_DEP_2) | instskip(SKIP_1) | instid1(VALU_DEP_3)
	v_xor_b32_e32 v7, v7, v11
	v_alignbit_b32 v6, v9, v6, 30
	v_dual_sub_nc_u32 v9, 31, v14 :: v_dual_lshlrev_b32 v24, 23, v14
	s_delay_alu instid0(VALU_DEP_2) | instskip(SKIP_1) | instid1(VALU_DEP_3)
	v_dual_lshrrev_b32 v11, 29, v5 :: v_dual_bitop2_b32 v6, v6, v11 bitop3:0x14
	v_lshrrev_b32_e32 v5, 30, v5
	v_alignbit_b32 v10, v10, v7, v9
	s_delay_alu instid0(VALU_DEP_3) | instskip(NEXT) | instid1(VALU_DEP_3)
	v_alignbit_b32 v6, v7, v6, v9
	v_dual_lshlrev_b32 v7, 31, v11 :: v_dual_add_nc_u32 v75, v8, v5
	s_delay_alu instid0(VALU_DEP_2) | instskip(NEXT) | instid1(VALU_DEP_2)
	v_alignbit_b32 v9, v10, v6, 9
	v_dual_lshrrev_b32 v10, 9, v10 :: v_dual_bitop2_b32 v11, 0.5, v7 bitop3:0x54
	v_or_b32_e32 v7, 0x33000000, v7
	s_delay_alu instid0(VALU_DEP_3) | instskip(NEXT) | instid1(VALU_DEP_3)
	v_clz_i32_u32_e32 v31, v9
	v_sub_nc_u32_e32 v11, v11, v24
	s_delay_alu instid0(VALU_DEP_2) | instskip(NEXT) | instid1(VALU_DEP_1)
	v_min_u32_e32 v24, 32, v31
	v_add_lshl_u32 v14, v24, v14, 23
	s_delay_alu instid0(VALU_DEP_3) | instskip(SKIP_1) | instid1(VALU_DEP_3)
	v_or_b32_e32 v10, v10, v11
	v_not_b32_e32 v11, v24
                                        ; implicit-def: $vgpr24
	v_sub_nc_u32_e32 v7, v7, v14
	s_delay_alu instid0(VALU_DEP_3) | instskip(NEXT) | instid1(VALU_DEP_3)
	v_mul_f32_e32 v31, 0x3fc90fda, v10
	v_alignbit_b32 v6, v9, v6, v11
	s_delay_alu instid0(VALU_DEP_2) | instskip(NEXT) | instid1(VALU_DEP_2)
	v_fma_f32 v9, 0x3fc90fda, v10, -v31
	v_lshrrev_b32_e32 v6, 9, v6
	s_delay_alu instid0(VALU_DEP_2) | instskip(NEXT) | instid1(VALU_DEP_2)
	v_fmac_f32_e32 v9, 0x33a22168, v10
	v_or_b32_e32 v6, v7, v6
	s_delay_alu instid0(VALU_DEP_1) | instskip(NEXT) | instid1(VALU_DEP_1)
	v_fmac_f32_e32 v9, 0x3fc90fda, v6
	v_add_f32_e32 v74, v31, v9
	s_and_not1_saveexec_b32 s8, s18
	s_cbranch_execnz .LBB1_73
	s_branch .LBB1_74
.LBB1_72:                               ;   in Loop: Header=BB1_28 Depth=1
	s_and_not1_saveexec_b32 s8, s18
.LBB1_73:                               ;   in Loop: Header=BB1_28 Depth=1
	v_fma_f32 v74, 0xbfc90fda, v24, |v66|
	v_cvt_i32_f32_e32 v75, v24
	s_delay_alu instid0(VALU_DEP_2) | instskip(NEXT) | instid1(VALU_DEP_1)
	v_fmac_f32_e32 v74, 0xb3a22168, v24
	v_fmac_f32_e32 v74, 0xa7c234c4, v24
.LBB1_74:                               ;   in Loop: Header=BB1_28 Depth=1
	s_or_b32 exec_lo, exec_lo, s8
	v_dual_mul_f32 v5, v25, v25 :: v_dual_mul_f32 v7, v68, v68
	v_dual_lshlrev_b32 v8, 30, v73 :: v_dual_bitop2_b32 v6, 1, v73 bitop3:0x40
	s_delay_alu instid0(VALU_DEP_2) | instskip(NEXT) | instid1(VALU_DEP_3)
	v_dual_mul_f32 v11, v71, v71 :: v_dual_fmaak_f32 v10, s34, v5, 0xbab64f3b
	v_dual_fmaak_f32 v9, s30, v5, 0x3c0881c4 :: v_dual_fmaak_f32 v14, s30, v7, 0x3c0881c4
	v_dual_fmaak_f32 v24, s34, v7, 0xbab64f3b :: v_dual_mul_f32 v31, v74, v74
	s_delay_alu instid0(VALU_DEP_3) | instskip(NEXT) | instid1(VALU_DEP_3)
	v_fmaak_f32 v70, s30, v11, 0x3c0881c4
	v_dual_fmaak_f32 v9, v5, v9, 0xbe2aaa9d :: v_dual_fmaak_f32 v14, v7, v14, 0xbe2aaa9d
	v_fmaak_f32 v10, v5, v10, 0x3d2aabf7
	v_cmp_eq_u32_e32 vcc_lo, 0, v6
	v_and_b32_e32 v6, 1, v69
	s_delay_alu instid0(VALU_DEP_4) | instskip(NEXT) | instid1(VALU_DEP_1)
	v_dual_mul_f32 v9, v5, v9 :: v_dual_fmaak_f32 v24, v7, v24, 0x3d2aabf7
	v_dual_mul_f32 v14, v7, v14 :: v_dual_fmac_f32 v25, v25, v9
	v_fmaak_f32 v9, s34, v11, 0xbab64f3b
	s_delay_alu instid0(VALU_DEP_3) | instskip(NEXT) | instid1(VALU_DEP_2)
	v_fmaak_f32 v24, v7, v24, 0xbf000004
	v_fmaak_f32 v9, v11, v9, 0x3d2aabf7
	s_delay_alu instid0(VALU_DEP_1) | instskip(NEXT) | instid1(VALU_DEP_1)
	v_dual_fmaak_f32 v10, v5, v10, 0xbf000004 :: v_dual_fmaak_f32 v9, v11, v9, 0xbf000004
	v_fma_f32 v5, v5, v10, 1.0
	v_fmac_f32_e32 v68, v68, v14
	v_fmaak_f32 v14, s30, v31, 0x3c0881c4
	s_delay_alu instid0(VALU_DEP_4) | instskip(NEXT) | instid1(VALU_DEP_4)
	v_fma_f32 v9, v11, v9, 1.0
	v_cndmask_b32_e64 v5, -v25, v5, vcc_lo
	v_fmaak_f32 v10, v11, v70, 0xbe2aaa9d
	v_cmp_eq_u32_e32 vcc_lo, 0, v6
	v_lshlrev_b32_e32 v25, 30, v75
	v_fma_f32 v7, v7, v24, 1.0
	v_fmaak_f32 v24, s34, v31, 0xbab64f3b
	v_bitop3_b32 v5, v8, v5, 0x80000000 bitop3:0x6c
	s_delay_alu instid0(VALU_DEP_3) | instskip(SKIP_1) | instid1(VALU_DEP_4)
	v_dual_cndmask_b32 v6, -v68, v7, vcc_lo :: v_dual_mul_f32 v7, v11, v10
	v_fmaak_f32 v10, v31, v14, 0xbe2aaa9d
	v_fmaak_f32 v14, v31, v24, 0x3d2aabf7
	s_delay_alu instid0(VALU_DEP_3) | instskip(NEXT) | instid1(VALU_DEP_3)
	v_dual_fmac_f32 v71, v71, v7 :: v_dual_lshlrev_b32 v24, 30, v69
	v_mul_f32_e32 v7, v31, v10
	s_delay_alu instid0(VALU_DEP_3) | instskip(SKIP_1) | instid1(VALU_DEP_4)
	v_fmaak_f32 v10, v31, v14, 0xbf000004
	v_dual_lshlrev_b32 v14, 30, v72 :: v_dual_bitop2_b32 v11, 1, v72 bitop3:0x40
	v_bitop3_b32 v6, v24, v6, 0x80000000 bitop3:0x6c
	s_delay_alu instid0(VALU_DEP_4) | instskip(NEXT) | instid1(VALU_DEP_4)
	v_fmac_f32_e32 v74, v74, v7
	v_fma_f32 v7, v31, v10, 1.0
	v_and_b32_e32 v10, 1, v75
	v_cmp_eq_u32_e32 vcc_lo, 0, v11
	v_bitop3_b32 v11, v67, v14, 0x80000000 bitop3:0x78
	v_cndmask_b32_e32 v9, v9, v71, vcc_lo
	s_delay_alu instid0(VALU_DEP_4) | instskip(SKIP_1) | instid1(VALU_DEP_3)
	v_cmp_eq_u32_e32 vcc_lo, 0, v10
	v_bitop3_b32 v10, v67, v25, 0x80000000 bitop3:0x78
	v_xor3_b32 v8, v11, v9, v66
	v_cndmask_b32_e32 v7, v7, v74, vcc_lo
	v_cmp_class_f32_e64 vcc_lo, v66, 0x1f8
	s_delay_alu instid0(VALU_DEP_2) | instskip(NEXT) | instid1(VALU_DEP_1)
	v_xor3_b32 v7, v10, v7, v66
	v_dual_sub_f32 v5, v5, v7 :: v_dual_add_f32 v6, v6, v8
	s_delay_alu instid0(VALU_DEP_1) | instskip(NEXT) | instid1(VALU_DEP_2)
	v_cndmask_b32_e32 v5, 0x7fc00000, v5, vcc_lo
	v_cndmask_b32_e32 v6, 0x7fc00000, v6, vcc_lo
	s_delay_alu instid0(VALU_DEP_1)
	v_dual_mul_f32 v66, v19, v5 :: v_dual_mul_f32 v67, v19, v6
.LBB1_75:                               ;   in Loop: Header=BB1_28 Depth=1
	s_and_not1_saveexec_b32 s17, s17
	s_cbranch_execz .LBB1_81
; %bb.76:                               ;   in Loop: Header=BB1_28 Depth=1
	global_load_b32 v5, v[118:119], off
                                        ; implicit-def: $vgpr66
                                        ; implicit-def: $vgpr10
	s_mov_b32 s9, exec_lo
	s_wait_loadcnt 0x0
	v_mul_f32_e32 v5, 0x40490fdb, v5
	s_delay_alu instid0(VALU_DEP_1) | instskip(NEXT) | instid1(VALU_DEP_1)
	v_mul_f32_e32 v24, v22, v5
	v_and_b32_e32 v25, 0x7fffffff, v24
	s_wait_xcnt 0x0
	v_cmpx_ngt_f32_e64 0x48000000, |v24|
	s_xor_b32 s18, exec_lo, s9
	s_cbranch_execz .LBB1_78
; %bb.77:                               ;   in Loop: Header=BB1_28 Depth=1
	v_and_or_b32 v14, v25, s31, 0x800000
	v_dual_lshrrev_b32 v5, 23, v25 :: v_dual_mov_b32 v71, v15
	s_delay_alu instid0(VALU_DEP_2) | instskip(SKIP_1) | instid1(VALU_DEP_3)
	v_mul_u64_e32 v[6:7], s[28:29], v[14:15]
	v_mov_b32_e32 v9, v15
	v_add_nc_u32_e32 v5, 0xffffff88, v5
	s_delay_alu instid0(VALU_DEP_1) | instskip(NEXT) | instid1(VALU_DEP_4)
	v_cmp_lt_u32_e32 vcc_lo, 63, v5
	v_mov_b32_e32 v8, v7
	v_cndmask_b32_e64 v7, 0, 0xffffffc0, vcc_lo
	s_delay_alu instid0(VALU_DEP_2) | instskip(NEXT) | instid1(VALU_DEP_1)
	v_mad_nc_u64_u32 v[8:9], 0x3c439041, v14, v[8:9]
	v_dual_mov_b32 v11, v15 :: v_dual_mov_b32 v10, v9
	s_delay_alu instid0(VALU_DEP_1) | instskip(NEXT) | instid1(VALU_DEP_1)
	v_mad_nc_u64_u32 v[10:11], 0xdb629599, v14, v[10:11]
	v_dual_mov_b32 v67, v15 :: v_dual_mov_b32 v66, v11
	s_delay_alu instid0(VALU_DEP_1) | instskip(NEXT) | instid1(VALU_DEP_1)
	;; [unrolled: 3-line block ×3, first 2 shown]
	v_mad_nc_u64_u32 v[68:69], 0xfc2757d1, v14, v[68:69]
	v_dual_mov_b32 v70, v69 :: v_dual_cndmask_b32 v31, v68, v10
	s_delay_alu instid0(VALU_DEP_1) | instskip(SKIP_1) | instid1(VALU_DEP_2)
	v_mad_nc_u64_u32 v[70:71], 0x4e441529, v14, v[70:71]
	v_mov_b32_e32 v73, v15
	v_dual_add_nc_u32 v5, v7, v5 :: v_dual_cndmask_b32 v9, v70, v66, vcc_lo
	s_delay_alu instid0(VALU_DEP_3) | instskip(NEXT) | instid1(VALU_DEP_2)
	v_mov_b32_e32 v72, v71
	v_cmp_lt_u32_e64 s8, 31, v5
	s_delay_alu instid0(VALU_DEP_2) | instskip(NEXT) | instid1(VALU_DEP_2)
	v_mad_nc_u64_u32 v[72:73], 0xa2f9836e, v14, v[72:73]
	v_cndmask_b32_e64 v7, 0, 0xffffffe0, s8
	s_delay_alu instid0(VALU_DEP_1) | instskip(NEXT) | instid1(VALU_DEP_1)
	v_dual_add_nc_u32 v5, v7, v5 :: v_dual_cndmask_b32 v11, v72, v68, vcc_lo
	v_cmp_lt_u32_e64 s9, 31, v5
	s_delay_alu instid0(VALU_DEP_1) | instskip(NEXT) | instid1(VALU_DEP_1)
	v_cndmask_b32_e64 v7, 0, 0xffffffe0, s9
	v_dual_cndmask_b32 v14, v73, v70 :: v_dual_add_nc_u32 v5, v7, v5
	s_delay_alu instid0(VALU_DEP_4) | instskip(NEXT) | instid1(VALU_DEP_2)
	v_dual_cndmask_b32 v7, v66, v8, vcc_lo :: v_dual_cndmask_b32 v8, v11, v9, s8
	v_cndmask_b32_e64 v11, v14, v11, s8
	s_delay_alu instid0(VALU_DEP_3) | instskip(NEXT) | instid1(VALU_DEP_3)
	v_dual_cndmask_b32 v9, v9, v31, s8 :: v_dual_sub_nc_u32 v14, 32, v5
	v_cndmask_b32_e64 v31, v31, v7, s8
	s_delay_alu instid0(VALU_DEP_2) | instskip(NEXT) | instid1(VALU_DEP_2)
	v_dual_cndmask_b32 v11, v11, v8, s9 :: v_dual_cndmask_b32 v8, v8, v9, s9
	v_dual_cndmask_b32 v6, v10, v6, vcc_lo :: v_dual_cndmask_b32 v9, v9, v31, s9
	v_cmp_eq_u32_e32 vcc_lo, 0, v5
	s_delay_alu instid0(VALU_DEP_3) | instskip(NEXT) | instid1(VALU_DEP_3)
	v_alignbit_b32 v66, v11, v8, v14
	v_cndmask_b32_e64 v6, v7, v6, s8
	s_delay_alu instid0(VALU_DEP_4) | instskip(NEXT) | instid1(VALU_DEP_3)
	v_alignbit_b32 v10, v8, v9, v14
	v_cndmask_b32_e32 v5, v66, v11, vcc_lo
	s_delay_alu instid0(VALU_DEP_2) | instskip(NEXT) | instid1(VALU_DEP_2)
	v_cndmask_b32_e32 v7, v10, v8, vcc_lo
	v_bfe_u32 v8, v5, 29, 1
	v_cndmask_b32_e64 v6, v31, v6, s9
	s_delay_alu instid0(VALU_DEP_3) | instskip(NEXT) | instid1(VALU_DEP_3)
	v_alignbit_b32 v10, v5, v7, 30
	v_sub_nc_u32_e32 v11, 0, v8
	s_delay_alu instid0(VALU_DEP_3) | instskip(NEXT) | instid1(VALU_DEP_2)
	v_alignbit_b32 v14, v9, v6, v14
	v_xor_b32_e32 v10, v10, v11
	s_delay_alu instid0(VALU_DEP_2) | instskip(NEXT) | instid1(VALU_DEP_2)
	v_cndmask_b32_e32 v9, v14, v9, vcc_lo
	v_clz_i32_u32_e32 v14, v10
	s_delay_alu instid0(VALU_DEP_2) | instskip(NEXT) | instid1(VALU_DEP_2)
	v_alignbit_b32 v7, v7, v9, 30
	v_min_u32_e32 v14, 32, v14
	s_delay_alu instid0(VALU_DEP_2) | instskip(SKIP_1) | instid1(VALU_DEP_3)
	v_xor_b32_e32 v7, v7, v11
	v_alignbit_b32 v6, v9, v6, 30
	v_dual_sub_nc_u32 v9, 31, v14 :: v_dual_lshlrev_b32 v31, 23, v14
	s_delay_alu instid0(VALU_DEP_2) | instskip(SKIP_1) | instid1(VALU_DEP_3)
	v_dual_lshrrev_b32 v11, 29, v5 :: v_dual_bitop2_b32 v6, v6, v11 bitop3:0x14
	v_lshrrev_b32_e32 v5, 30, v5
	v_alignbit_b32 v10, v10, v7, v9
	s_delay_alu instid0(VALU_DEP_3) | instskip(NEXT) | instid1(VALU_DEP_4)
	v_alignbit_b32 v6, v7, v6, v9
	v_lshlrev_b32_e32 v7, 31, v11
	s_delay_alu instid0(VALU_DEP_2) | instskip(NEXT) | instid1(VALU_DEP_2)
	v_alignbit_b32 v9, v10, v6, 9
	v_dual_lshrrev_b32 v10, 9, v10 :: v_dual_bitop2_b32 v11, 0.5, v7 bitop3:0x54
	v_or_b32_e32 v7, 0x33000000, v7
	s_delay_alu instid0(VALU_DEP_3) | instskip(NEXT) | instid1(VALU_DEP_3)
	v_clz_i32_u32_e32 v66, v9
	v_sub_nc_u32_e32 v11, v11, v31
	s_delay_alu instid0(VALU_DEP_2) | instskip(NEXT) | instid1(VALU_DEP_1)
	v_min_u32_e32 v31, 32, v66
	v_add_lshl_u32 v14, v31, v14, 23
	s_delay_alu instid0(VALU_DEP_3) | instskip(SKIP_1) | instid1(VALU_DEP_3)
	v_or_b32_e32 v10, v10, v11
	v_not_b32_e32 v11, v31
	v_sub_nc_u32_e32 v7, v7, v14
	s_delay_alu instid0(VALU_DEP_3) | instskip(NEXT) | instid1(VALU_DEP_3)
	v_mul_f32_e32 v66, 0x3fc90fda, v10
	v_alignbit_b32 v6, v9, v6, v11
	s_delay_alu instid0(VALU_DEP_2) | instskip(NEXT) | instid1(VALU_DEP_2)
	v_fma_f32 v9, 0x3fc90fda, v10, -v66
	v_lshrrev_b32_e32 v6, 9, v6
	s_delay_alu instid0(VALU_DEP_2) | instskip(NEXT) | instid1(VALU_DEP_2)
	v_fmac_f32_e32 v9, 0x33a22168, v10
	v_or_b32_e32 v6, v7, v6
	s_delay_alu instid0(VALU_DEP_1) | instskip(NEXT) | instid1(VALU_DEP_1)
	v_fmac_f32_e32 v9, 0x3fc90fda, v6
	v_add_f32_e32 v10, v66, v9
	v_add_nc_u32_e32 v66, v8, v5
.LBB1_78:                               ;   in Loop: Header=BB1_28 Depth=1
	s_and_not1_saveexec_b32 s8, s18
; %bb.79:                               ;   in Loop: Header=BB1_28 Depth=1
	v_mul_f32_e64 v5, 0x3f22f983, |v24|
	s_delay_alu instid0(VALU_DEP_1) | instskip(NEXT) | instid1(VALU_DEP_1)
	v_rndne_f32_e32 v5, v5
	v_fma_f32 v10, 0xbfc90fda, v5, |v24|
	v_cvt_i32_f32_e32 v66, v5
	s_delay_alu instid0(VALU_DEP_2) | instskip(NEXT) | instid1(VALU_DEP_1)
	v_fmac_f32_e32 v10, 0xb3a22168, v5
	v_fmac_f32_e32 v10, 0xa7c234c4, v5
; %bb.80:                               ;   in Loop: Header=BB1_28 Depth=1
	s_or_b32 exec_lo, exec_lo, s8
	s_delay_alu instid0(VALU_DEP_1) | instskip(NEXT) | instid1(VALU_DEP_1)
	v_mul_f32_e32 v5, v10, v10
	v_fmaak_f32 v6, s23, v5, 0xbf039337
	v_fmaak_f32 v7, s36, v5, 0x3ec54587
	s_delay_alu instid0(VALU_DEP_2) | instskip(NEXT) | instid1(VALU_DEP_1)
	v_fmaak_f32 v6, v5, v6, 0x3f93f425
	v_rcp_f32_e32 v6, v6
	v_nop
	s_delay_alu instid0(TRANS32_DEP_1) | instskip(NEXT) | instid1(VALU_DEP_1)
	v_mul_f32_e32 v6, v7, v6
	v_mul_f32_e32 v5, v5, v6
	s_delay_alu instid0(VALU_DEP_1) | instskip(NEXT) | instid1(VALU_DEP_1)
	v_fma_f32 v6, v5, v10, v10
	v_sub_f32_e32 v8, v6, v10
	s_delay_alu instid0(VALU_DEP_1) | instskip(SKIP_2) | instid1(TRANS32_DEP_1)
	v_fma_f32 v5, v5, v10, -v8
	v_rcp_f32_e32 v7, v6
	v_nop
	v_fma_f32 v8, v6, -v7, 1.0
	s_delay_alu instid0(VALU_DEP_1) | instskip(NEXT) | instid1(VALU_DEP_1)
	v_dual_fma_f32 v5, v5, -v7, v8 :: v_dual_bitop2_b32 v8, 1, v66 bitop3:0x40
	v_fma_f32 v5, v5, -v7, -v7
	s_delay_alu instid0(VALU_DEP_2) | instskip(NEXT) | instid1(VALU_DEP_2)
	v_cmp_eq_u32_e32 vcc_lo, 0, v8
	v_cndmask_b32_e32 v5, v5, v6, vcc_lo
	v_cmp_class_f32_e64 vcc_lo, v24, 0x1f8
	s_delay_alu instid0(VALU_DEP_2) | instskip(NEXT) | instid1(VALU_DEP_1)
	v_xor3_b32 v5, v25, v24, v5
	v_cndmask_b32_e32 v5, 0x7fc00000, v5, vcc_lo
	s_delay_alu instid0(VALU_DEP_1) | instskip(NEXT) | instid1(VALU_DEP_1)
	v_mul_f32_e32 v5, v22, v5
	v_div_scale_f32 v6, null, v16, v16, v5
	s_delay_alu instid0(VALU_DEP_1) | instskip(SKIP_1) | instid1(TRANS32_DEP_1)
	v_rcp_f32_e32 v7, v6
	v_nop
	v_fma_f32 v8, -v6, v7, 1.0
	s_delay_alu instid0(VALU_DEP_1) | instskip(SKIP_1) | instid1(VALU_DEP_1)
	v_fmac_f32_e32 v7, v8, v7
	v_div_scale_f32 v8, vcc_lo, v5, v16, v5
	v_mul_f32_e32 v9, v8, v7
	s_delay_alu instid0(VALU_DEP_1) | instskip(NEXT) | instid1(VALU_DEP_1)
	v_fma_f32 v10, -v6, v9, v8
	v_fmac_f32_e32 v9, v10, v7
	s_delay_alu instid0(VALU_DEP_1) | instskip(NEXT) | instid1(VALU_DEP_1)
	v_fma_f32 v6, -v6, v9, v8
	v_div_fmas_f32 v6, v6, v7, v9
	s_delay_alu instid0(VALU_DEP_1) | instskip(NEXT) | instid1(VALU_DEP_1)
	v_div_fixup_f32 v6, v6, v16, v5
	v_pk_mul_f32 v[66:67], v[36:37], v[6:7] op_sel_hi:[1,0]
.LBB1_81:                               ;   in Loop: Header=BB1_28 Depth=1
	s_or_b32 exec_lo, exec_lo, s17
.LBB1_82:                               ;   in Loop: Header=BB1_28 Depth=1
	s_delay_alu instid0(SALU_CYCLE_1)
	s_or_b32 exec_lo, exec_lo, s16
                                        ; implicit-def: $vgpr10
.LBB1_83:                               ;   in Loop: Header=BB1_28 Depth=1
	s_and_not1_saveexec_b32 s15, s15
	s_cbranch_execz .LBB1_115
; %bb.84:                               ;   in Loop: Header=BB1_28 Depth=1
	s_mov_b32 s8, exec_lo
	v_cmpx_lt_i32_e32 41, v10
	s_xor_b32 s8, exec_lo, s8
	s_cbranch_execz .LBB1_90
; %bb.85:                               ;   in Loop: Header=BB1_28 Depth=1
	s_mov_b32 s9, exec_lo
                                        ; implicit-def: $vgpr67
	v_cmpx_lt_i32_e32 42, v10
	s_xor_b32 s9, exec_lo, s9
	s_cbranch_execz .LBB1_87
; %bb.86:                               ;   in Loop: Header=BB1_28 Depth=1
	global_load_b32 v7, v[118:119], off
	scratch_load_b64 v[8:9], off, off offset:32 ; 8-byte Folded Reload
	s_wait_loadcnt 0x0
	global_load_b32 v6, v[8:9], off
	s_wait_loadcnt 0x0
	v_pk_add_f32 v[66:67], v[6:7], -0.5 op_sel_hi:[1,0]
.LBB1_87:                               ;   in Loop: Header=BB1_28 Depth=1
	s_wait_xcnt 0x0
	s_and_not1_saveexec_b32 s9, s9
	s_cbranch_execz .LBB1_89
; %bb.88:                               ;   in Loop: Header=BB1_28 Depth=1
	s_wait_loadcnt 0x0
	v_dual_mov_b32 v67, v85 :: v_dual_mov_b32 v66, v86
.LBB1_89:                               ;   in Loop: Header=BB1_28 Depth=1
	s_or_b32 exec_lo, exec_lo, s9
                                        ; implicit-def: $vgpr10
.LBB1_90:                               ;   in Loop: Header=BB1_28 Depth=1
	s_and_not1_saveexec_b32 s16, s8
	s_cbranch_execz .LBB1_114
; %bb.91:                               ;   in Loop: Header=BB1_28 Depth=1
	s_mov_b32 s8, exec_lo
	v_cmpx_lt_i32_e32 40, v10
	s_xor_b32 s17, exec_lo, s8
	s_cbranch_execz .LBB1_101
; %bb.92:                               ;   in Loop: Header=BB1_28 Depth=1
	global_load_b32 v5, v[118:119], off
                                        ; implicit-def: $vgpr67
                                        ; implicit-def: $vgpr25
	s_wait_loadcnt 0x0
	v_mul_f32_e32 v5, 0x40490fdb, v5
	s_delay_alu instid0(VALU_DEP_1) | instskip(NEXT) | instid1(VALU_DEP_1)
	v_mul_f32_e32 v66, v22, v5
	v_and_b32_e32 v24, 0x7fffffff, v66
	s_delay_alu instid0(VALU_DEP_1) | instskip(SKIP_2) | instid1(VALU_DEP_3)
	v_lshrrev_b32_e32 v5, 23, v24
	v_cmp_ngt_f32_e64 s18, 0x48000000, |v66|
	v_and_or_b32 v14, v24, s31, 0x800000
	v_add_nc_u32_e32 v68, 0xffffff88, v5
	s_wait_xcnt 0x0
	s_and_saveexec_b32 s8, s18
	s_delay_alu instid0(SALU_CYCLE_1)
	s_xor_b32 s19, exec_lo, s8
	s_cbranch_execz .LBB1_94
; %bb.93:                               ;   in Loop: Header=BB1_28 Depth=1
	v_mul_u64_e32 v[6:7], s[28:29], v[14:15]
	v_mov_b32_e32 v9, v15
	v_cmp_lt_u32_e32 vcc_lo, 63, v68
	v_mov_b32_e32 v77, v15
	v_cndmask_b32_e64 v5, 0, 0xffffffc0, vcc_lo
	s_delay_alu instid0(VALU_DEP_1) | instskip(NEXT) | instid1(VALU_DEP_1)
	v_add_nc_u32_e32 v5, v5, v68
	v_cmp_lt_u32_e64 s8, 31, v5
	v_mov_b32_e32 v8, v7
	s_delay_alu instid0(VALU_DEP_2) | instskip(NEXT) | instid1(VALU_DEP_2)
	v_cndmask_b32_e64 v7, 0, 0xffffffe0, s8
	v_mad_nc_u64_u32 v[8:9], 0x3c439041, v14, v[8:9]
	s_delay_alu instid0(VALU_DEP_1) | instskip(NEXT) | instid1(VALU_DEP_1)
	v_dual_mov_b32 v11, v15 :: v_dual_mov_b32 v10, v9
	v_mad_nc_u64_u32 v[10:11], 0xdb629599, v14, v[10:11]
	s_delay_alu instid0(VALU_DEP_1) | instskip(NEXT) | instid1(VALU_DEP_1)
	v_dual_mov_b32 v71, v15 :: v_dual_mov_b32 v70, v11
	;; [unrolled: 3-line block ×3, first 2 shown]
	v_mad_nc_u64_u32 v[72:73], 0xfc2757d1, v14, v[72:73]
	s_delay_alu instid0(VALU_DEP_1) | instskip(NEXT) | instid1(VALU_DEP_2)
	v_dual_mov_b32 v75, v15 :: v_dual_mov_b32 v74, v73
	v_cndmask_b32_e32 v31, v72, v10, vcc_lo
	s_delay_alu instid0(VALU_DEP_2) | instskip(NEXT) | instid1(VALU_DEP_1)
	v_mad_nc_u64_u32 v[74:75], 0x4e441529, v14, v[74:75]
	v_dual_mov_b32 v76, v75 :: v_dual_cndmask_b32 v9, v74, v70
	s_delay_alu instid0(VALU_DEP_1) | instskip(NEXT) | instid1(VALU_DEP_1)
	v_mad_nc_u64_u32 v[76:77], 0xa2f9836e, v14, v[76:77]
	v_dual_add_nc_u32 v5, v7, v5 :: v_dual_cndmask_b32 v11, v76, v72, vcc_lo
	s_delay_alu instid0(VALU_DEP_1) | instskip(NEXT) | instid1(VALU_DEP_1)
	v_cmp_lt_u32_e64 s9, 31, v5
	v_cndmask_b32_e64 v7, 0, 0xffffffe0, s9
	s_delay_alu instid0(VALU_DEP_1) | instskip(NEXT) | instid1(VALU_DEP_4)
	v_dual_cndmask_b32 v25, v77, v74, vcc_lo :: v_dual_add_nc_u32 v5, v7, v5
	v_dual_cndmask_b32 v7, v70, v8, vcc_lo :: v_dual_cndmask_b32 v8, v11, v9, s8
	s_delay_alu instid0(VALU_DEP_2) | instskip(NEXT) | instid1(VALU_DEP_3)
	v_cndmask_b32_e64 v11, v25, v11, s8
	v_dual_cndmask_b32 v9, v9, v31, s8 :: v_dual_sub_nc_u32 v25, 32, v5
	s_delay_alu instid0(VALU_DEP_3) | instskip(NEXT) | instid1(VALU_DEP_2)
	v_cndmask_b32_e64 v31, v31, v7, s8
	v_dual_cndmask_b32 v11, v11, v8, s9 :: v_dual_cndmask_b32 v8, v8, v9, s9
	s_delay_alu instid0(VALU_DEP_2) | instskip(NEXT) | instid1(VALU_DEP_2)
	v_cndmask_b32_e64 v9, v9, v31, s9
	v_alignbit_b32 v67, v11, v8, v25
	v_cndmask_b32_e32 v6, v10, v6, vcc_lo
	v_cmp_eq_u32_e32 vcc_lo, 0, v5
	s_delay_alu instid0(VALU_DEP_4) | instskip(NEXT) | instid1(VALU_DEP_4)
	v_alignbit_b32 v10, v8, v9, v25
	v_cndmask_b32_e32 v5, v67, v11, vcc_lo
	s_delay_alu instid0(VALU_DEP_2) | instskip(NEXT) | instid1(VALU_DEP_2)
	v_dual_cndmask_b32 v6, v7, v6, s8 :: v_dual_cndmask_b32 v7, v10, v8, vcc_lo
	v_bfe_u32 v8, v5, 29, 1
	s_delay_alu instid0(VALU_DEP_2) | instskip(NEXT) | instid1(VALU_DEP_3)
	v_cndmask_b32_e64 v6, v31, v6, s9
	v_alignbit_b32 v10, v5, v7, 30
	s_delay_alu instid0(VALU_DEP_3) | instskip(NEXT) | instid1(VALU_DEP_3)
	v_sub_nc_u32_e32 v11, 0, v8
	v_alignbit_b32 v25, v9, v6, v25
	s_delay_alu instid0(VALU_DEP_1) | instskip(NEXT) | instid1(VALU_DEP_1)
	v_dual_cndmask_b32 v9, v25, v9, vcc_lo :: v_dual_bitop2_b32 v10, v10, v11 bitop3:0x14
	v_clz_i32_u32_e32 v25, v10
	s_delay_alu instid0(VALU_DEP_2) | instskip(SKIP_1) | instid1(VALU_DEP_3)
	v_alignbit_b32 v7, v7, v9, 30
	v_alignbit_b32 v6, v9, v6, 30
	v_min_u32_e32 v25, 32, v25
	s_delay_alu instid0(VALU_DEP_3) | instskip(NEXT) | instid1(VALU_DEP_3)
	v_xor_b32_e32 v7, v7, v11
	v_dual_lshrrev_b32 v11, 29, v5 :: v_dual_bitop2_b32 v6, v6, v11 bitop3:0x14
	v_lshrrev_b32_e32 v5, 30, v5
	s_delay_alu instid0(VALU_DEP_4) | instskip(NEXT) | instid1(VALU_DEP_1)
	v_dual_sub_nc_u32 v9, 31, v25 :: v_dual_lshlrev_b32 v31, 23, v25
	v_alignbit_b32 v10, v10, v7, v9
	s_delay_alu instid0(VALU_DEP_4) | instskip(SKIP_1) | instid1(VALU_DEP_2)
	v_alignbit_b32 v6, v7, v6, v9
	v_lshlrev_b32_e32 v7, 31, v11
	v_alignbit_b32 v9, v10, v6, 9
	s_delay_alu instid0(VALU_DEP_2) | instskip(SKIP_1) | instid1(VALU_DEP_3)
	v_dual_lshrrev_b32 v10, 9, v10 :: v_dual_bitop2_b32 v11, 0.5, v7 bitop3:0x54
	v_or_b32_e32 v7, 0x33000000, v7
	v_clz_i32_u32_e32 v67, v9
	s_delay_alu instid0(VALU_DEP_3) | instskip(NEXT) | instid1(VALU_DEP_2)
	v_sub_nc_u32_e32 v11, v11, v31
	v_min_u32_e32 v31, 32, v67
	s_delay_alu instid0(VALU_DEP_1) | instskip(NEXT) | instid1(VALU_DEP_3)
	v_add_lshl_u32 v25, v31, v25, 23
	v_or_b32_e32 v10, v10, v11
	v_not_b32_e32 v11, v31
	s_delay_alu instid0(VALU_DEP_3) | instskip(NEXT) | instid1(VALU_DEP_3)
	v_sub_nc_u32_e32 v7, v7, v25
	v_mul_f32_e32 v67, 0x3fc90fda, v10
	s_delay_alu instid0(VALU_DEP_3) | instskip(NEXT) | instid1(VALU_DEP_2)
	v_alignbit_b32 v6, v9, v6, v11
	v_fma_f32 v9, 0x3fc90fda, v10, -v67
	s_delay_alu instid0(VALU_DEP_2) | instskip(NEXT) | instid1(VALU_DEP_2)
	v_lshrrev_b32_e32 v6, 9, v6
	v_fmac_f32_e32 v9, 0x33a22168, v10
	s_delay_alu instid0(VALU_DEP_2) | instskip(NEXT) | instid1(VALU_DEP_1)
	v_or_b32_e32 v6, v7, v6
	v_fmac_f32_e32 v9, 0x3fc90fda, v6
	s_delay_alu instid0(VALU_DEP_1)
	v_add_f32_e32 v25, v67, v9
	v_add_nc_u32_e32 v67, v8, v5
.LBB1_94:                               ;   in Loop: Header=BB1_28 Depth=1
	s_or_saveexec_b32 s8, s19
	v_mul_f32_e64 v5, 0x3f22f983, |v66|
	s_delay_alu instid0(VALU_DEP_1)
	v_rndne_f32_e32 v71, v5
	s_xor_b32 exec_lo, exec_lo, s8
; %bb.95:                               ;   in Loop: Header=BB1_28 Depth=1
	s_delay_alu instid0(VALU_DEP_1) | instskip(SKIP_1) | instid1(VALU_DEP_2)
	v_fma_f32 v25, 0xbfc90fda, v71, |v66|
	v_cvt_i32_f32_e32 v67, v71
	v_fmac_f32_e32 v25, 0xb3a22168, v71
	s_delay_alu instid0(VALU_DEP_1)
	v_fmac_f32_e32 v25, 0xa7c234c4, v71
; %bb.96:                               ;   in Loop: Header=BB1_28 Depth=1
	s_or_b32 exec_lo, exec_lo, s8
                                        ; implicit-def: $vgpr70
                                        ; implicit-def: $vgpr69
	s_and_saveexec_b32 s8, s18
	s_delay_alu instid0(SALU_CYCLE_1)
	s_xor_b32 s18, exec_lo, s8
	s_cbranch_execz .LBB1_98
; %bb.97:                               ;   in Loop: Header=BB1_28 Depth=1
	v_mul_u64_e32 v[6:7], s[28:29], v[14:15]
	v_mov_b32_e32 v9, v15
	v_cmp_lt_u32_e32 vcc_lo, 63, v68
	v_mov_b32_e32 v69, v15
	v_cndmask_b32_e64 v5, 0, 0xffffffc0, vcc_lo
	s_delay_alu instid0(VALU_DEP_1) | instskip(NEXT) | instid1(VALU_DEP_1)
	v_add_nc_u32_e32 v5, v5, v68
	v_cmp_lt_u32_e64 s8, 31, v5
	v_mov_b32_e32 v8, v7
	s_delay_alu instid0(VALU_DEP_2) | instskip(NEXT) | instid1(VALU_DEP_2)
	v_cndmask_b32_e64 v7, 0, 0xffffffe0, s8
	v_mad_nc_u64_u32 v[8:9], 0x3c439041, v14, v[8:9]
	s_delay_alu instid0(VALU_DEP_1) | instskip(NEXT) | instid1(VALU_DEP_1)
	v_dual_mov_b32 v11, v15 :: v_dual_mov_b32 v10, v9
	v_mad_nc_u64_u32 v[10:11], 0xdb629599, v14, v[10:11]
	s_delay_alu instid0(VALU_DEP_1) | instskip(NEXT) | instid1(VALU_DEP_1)
	v_dual_mov_b32 v71, v15 :: v_dual_mov_b32 v70, v11
	;; [unrolled: 3-line block ×3, first 2 shown]
                                        ; implicit-def: $vgpr71
	v_mad_nc_u64_u32 v[72:73], 0xfc2757d1, v14, v[72:73]
	s_delay_alu instid0(VALU_DEP_1) | instskip(NEXT) | instid1(VALU_DEP_2)
	v_dual_mov_b32 v75, v15 :: v_dual_mov_b32 v74, v73
	v_cndmask_b32_e32 v31, v72, v10, vcc_lo
	s_delay_alu instid0(VALU_DEP_2) | instskip(NEXT) | instid1(VALU_DEP_1)
	v_mad_nc_u64_u32 v[74:75], 0x4e441529, v14, v[74:75]
	v_dual_mov_b32 v68, v75 :: v_dual_cndmask_b32 v9, v74, v70
	s_delay_alu instid0(VALU_DEP_1) | instskip(NEXT) | instid1(VALU_DEP_1)
	v_mad_nc_u64_u32 v[68:69], 0xa2f9836e, v14, v[68:69]
	v_dual_add_nc_u32 v5, v7, v5 :: v_dual_cndmask_b32 v11, v68, v72, vcc_lo
	s_delay_alu instid0(VALU_DEP_1) | instskip(NEXT) | instid1(VALU_DEP_1)
	v_cmp_lt_u32_e64 s9, 31, v5
	v_cndmask_b32_e64 v7, 0, 0xffffffe0, s9
	s_delay_alu instid0(VALU_DEP_1) | instskip(NEXT) | instid1(VALU_DEP_4)
	v_dual_cndmask_b32 v14, v69, v74 :: v_dual_add_nc_u32 v5, v7, v5
	v_dual_cndmask_b32 v7, v70, v8, vcc_lo :: v_dual_cndmask_b32 v8, v11, v9, s8
	s_delay_alu instid0(VALU_DEP_2) | instskip(NEXT) | instid1(VALU_DEP_3)
	v_cndmask_b32_e64 v11, v14, v11, s8
	v_dual_cndmask_b32 v9, v9, v31, s8 :: v_dual_sub_nc_u32 v14, 32, v5
	s_delay_alu instid0(VALU_DEP_3) | instskip(NEXT) | instid1(VALU_DEP_2)
	v_cndmask_b32_e64 v31, v31, v7, s8
	v_dual_cndmask_b32 v11, v11, v8, s9 :: v_dual_cndmask_b32 v8, v8, v9, s9
	s_delay_alu instid0(VALU_DEP_2) | instskip(NEXT) | instid1(VALU_DEP_2)
	v_cndmask_b32_e64 v9, v9, v31, s9
	v_alignbit_b32 v68, v11, v8, v14
	v_cndmask_b32_e32 v6, v10, v6, vcc_lo
	v_cmp_eq_u32_e32 vcc_lo, 0, v5
	s_delay_alu instid0(VALU_DEP_4) | instskip(NEXT) | instid1(VALU_DEP_3)
	v_alignbit_b32 v10, v8, v9, v14
	v_dual_cndmask_b32 v5, v68, v11, vcc_lo :: v_dual_cndmask_b32 v6, v7, v6, s8
	s_delay_alu instid0(VALU_DEP_2) | instskip(NEXT) | instid1(VALU_DEP_2)
	v_cndmask_b32_e32 v7, v10, v8, vcc_lo
	v_bfe_u32 v8, v5, 29, 1
	s_delay_alu instid0(VALU_DEP_3) | instskip(NEXT) | instid1(VALU_DEP_3)
	v_cndmask_b32_e64 v6, v31, v6, s9
	v_alignbit_b32 v10, v5, v7, 30
	s_delay_alu instid0(VALU_DEP_3) | instskip(NEXT) | instid1(VALU_DEP_3)
	v_sub_nc_u32_e32 v11, 0, v8
	v_alignbit_b32 v14, v9, v6, v14
	s_delay_alu instid0(VALU_DEP_2) | instskip(NEXT) | instid1(VALU_DEP_2)
	v_xor_b32_e32 v10, v10, v11
	v_cndmask_b32_e32 v9, v14, v9, vcc_lo
	s_delay_alu instid0(VALU_DEP_2) | instskip(NEXT) | instid1(VALU_DEP_2)
	v_clz_i32_u32_e32 v14, v10
	v_alignbit_b32 v7, v7, v9, 30
	s_delay_alu instid0(VALU_DEP_2) | instskip(NEXT) | instid1(VALU_DEP_2)
	v_min_u32_e32 v14, 32, v14
	v_xor_b32_e32 v7, v7, v11
	v_alignbit_b32 v6, v9, v6, 30
	s_delay_alu instid0(VALU_DEP_3) | instskip(NEXT) | instid1(VALU_DEP_2)
	v_dual_sub_nc_u32 v9, 31, v14 :: v_dual_lshlrev_b32 v31, 23, v14
	v_dual_lshrrev_b32 v11, 29, v5 :: v_dual_bitop2_b32 v6, v6, v11 bitop3:0x14
	v_lshrrev_b32_e32 v5, 30, v5
	s_delay_alu instid0(VALU_DEP_3) | instskip(NEXT) | instid1(VALU_DEP_3)
	v_alignbit_b32 v10, v10, v7, v9
	v_alignbit_b32 v6, v7, v6, v9
	s_delay_alu instid0(VALU_DEP_3) | instskip(NEXT) | instid1(VALU_DEP_2)
	v_dual_lshlrev_b32 v7, 31, v11 :: v_dual_add_nc_u32 v70, v8, v5
	v_alignbit_b32 v9, v10, v6, 9
	s_delay_alu instid0(VALU_DEP_2) | instskip(SKIP_1) | instid1(VALU_DEP_3)
	v_dual_lshrrev_b32 v10, 9, v10 :: v_dual_bitop2_b32 v11, 0.5, v7 bitop3:0x54
	v_or_b32_e32 v7, 0x33000000, v7
	v_clz_i32_u32_e32 v68, v9
	s_delay_alu instid0(VALU_DEP_3) | instskip(NEXT) | instid1(VALU_DEP_2)
	v_sub_nc_u32_e32 v11, v11, v31
	v_min_u32_e32 v31, 32, v68
	s_delay_alu instid0(VALU_DEP_1) | instskip(NEXT) | instid1(VALU_DEP_3)
	v_add_lshl_u32 v14, v31, v14, 23
	v_or_b32_e32 v10, v10, v11
	v_not_b32_e32 v11, v31
	s_delay_alu instid0(VALU_DEP_3) | instskip(NEXT) | instid1(VALU_DEP_3)
	v_sub_nc_u32_e32 v7, v7, v14
	v_mul_f32_e32 v68, 0x3fc90fda, v10
	s_delay_alu instid0(VALU_DEP_3) | instskip(NEXT) | instid1(VALU_DEP_2)
	v_alignbit_b32 v6, v9, v6, v11
	v_fma_f32 v9, 0x3fc90fda, v10, -v68
	s_delay_alu instid0(VALU_DEP_2) | instskip(NEXT) | instid1(VALU_DEP_2)
	v_lshrrev_b32_e32 v6, 9, v6
	v_fmac_f32_e32 v9, 0x33a22168, v10
	s_delay_alu instid0(VALU_DEP_2) | instskip(NEXT) | instid1(VALU_DEP_1)
	v_or_b32_e32 v6, v7, v6
	v_fmac_f32_e32 v9, 0x3fc90fda, v6
	s_delay_alu instid0(VALU_DEP_1)
	v_add_f32_e32 v69, v68, v9
	s_and_not1_saveexec_b32 s8, s18
	s_cbranch_execnz .LBB1_99
	s_branch .LBB1_100
.LBB1_98:                               ;   in Loop: Header=BB1_28 Depth=1
	s_and_not1_saveexec_b32 s8, s18
.LBB1_99:                               ;   in Loop: Header=BB1_28 Depth=1
	v_fma_f32 v69, 0xbfc90fda, v71, |v66|
	v_cvt_i32_f32_e32 v70, v71
	s_delay_alu instid0(VALU_DEP_2) | instskip(NEXT) | instid1(VALU_DEP_1)
	v_fmac_f32_e32 v69, 0xb3a22168, v71
	v_fmac_f32_e32 v69, 0xa7c234c4, v71
.LBB1_100:                              ;   in Loop: Header=BB1_28 Depth=1
	s_or_b32 exec_lo, exec_lo, s8
	v_dual_mul_f32 v5, v25, v25 :: v_dual_bitop2_b32 v7, 1, v67 bitop3:0x40
	s_delay_alu instid0(VALU_DEP_2) | instskip(NEXT) | instid1(VALU_DEP_2)
	v_dual_mul_f32 v6, v69, v69 :: v_dual_lshlrev_b32 v10, 30, v67
	v_fmaak_f32 v8, s30, v5, 0x3c0881c4
	s_delay_alu instid0(VALU_DEP_2) | instskip(SKIP_2) | instid1(VALU_DEP_4)
	v_dual_fmaak_f32 v9, s34, v5, 0xbab64f3b :: v_dual_fmaak_f32 v14, s34, v6, 0xbab64f3b
	v_fmaak_f32 v11, s30, v6, 0x3c0881c4
	v_cmp_eq_u32_e32 vcc_lo, 0, v7
	v_fmaak_f32 v8, v5, v8, 0xbe2aaa9d
	s_delay_alu instid0(VALU_DEP_4) | instskip(NEXT) | instid1(VALU_DEP_4)
	v_dual_fmaak_f32 v9, v5, v9, 0x3d2aabf7 :: v_dual_fmaak_f32 v14, v6, v14, 0x3d2aabf7
	v_fmaak_f32 v11, v6, v11, 0xbe2aaa9d
	s_delay_alu instid0(VALU_DEP_3) | instskip(NEXT) | instid1(VALU_DEP_3)
	v_dual_mul_f32 v8, v5, v8 :: v_dual_bitop2_b32 v24, v24, v66 bitop3:0x14
	v_dual_fmaak_f32 v9, v5, v9, 0xbf000004 :: v_dual_fmaak_f32 v14, v6, v14, 0xbf000004
	s_delay_alu instid0(VALU_DEP_3) | instskip(NEXT) | instid1(VALU_DEP_3)
	v_dual_mul_f32 v11, v6, v11 :: v_dual_bitop2_b32 v31, 1, v70 bitop3:0x40
	v_dual_fmac_f32 v25, v25, v8 :: v_dual_lshlrev_b32 v7, 30, v70
	s_delay_alu instid0(VALU_DEP_3) | instskip(SKIP_1) | instid1(VALU_DEP_4)
	v_fma_f32 v5, v5, v9, 1.0
	v_and_b32_e32 v8, 0x80000000, v10
	v_fmac_f32_e32 v69, v69, v11
	v_fma_f32 v6, v6, v14, 1.0
	s_delay_alu instid0(VALU_DEP_4) | instskip(SKIP_1) | instid1(VALU_DEP_2)
	v_cndmask_b32_e32 v5, v5, v25, vcc_lo
	v_cmp_eq_u32_e32 vcc_lo, 0, v31
	v_xor3_b32 v5, v24, v8, v5
	s_delay_alu instid0(VALU_DEP_4) | instskip(SKIP_1) | instid1(VALU_DEP_2)
	v_cndmask_b32_e64 v6, -v69, v6, vcc_lo
	v_cmp_class_f32_e64 vcc_lo, v66, 0x1f8
	v_bitop3_b32 v6, v7, v6, 0x80000000 bitop3:0x6c
	s_delay_alu instid0(VALU_DEP_4) | instskip(NEXT) | instid1(VALU_DEP_1)
	v_cndmask_b32_e32 v67, 0x7fc00000, v5, vcc_lo
	v_dual_cndmask_b32 v5, 0x7fc00000, v6 :: v_dual_mul_f32 v6, v67, v67
	s_delay_alu instid0(VALU_DEP_1) | instskip(NEXT) | instid1(VALU_DEP_1)
	v_div_scale_f32 v7, null, v5, v5, v6
	v_rcp_f32_e32 v8, v7
	v_nop
	s_delay_alu instid0(TRANS32_DEP_1) | instskip(NEXT) | instid1(VALU_DEP_1)
	v_fma_f32 v9, -v7, v8, 1.0
	v_fmac_f32_e32 v8, v9, v8
	v_div_scale_f32 v9, vcc_lo, v6, v5, v6
	s_delay_alu instid0(VALU_DEP_1) | instskip(NEXT) | instid1(VALU_DEP_1)
	v_mul_f32_e32 v10, v9, v8
	v_fma_f32 v11, -v7, v10, v9
	s_delay_alu instid0(VALU_DEP_1) | instskip(NEXT) | instid1(VALU_DEP_1)
	v_fmac_f32_e32 v10, v11, v8
	v_fma_f32 v7, -v7, v10, v9
	s_delay_alu instid0(VALU_DEP_1) | instskip(NEXT) | instid1(VALU_DEP_1)
	v_div_fmas_f32 v7, v7, v8, v10
                                        ; implicit-def: $vgpr10
	v_div_fixup_f32 v66, v7, v5, v6
.LBB1_101:                              ;   in Loop: Header=BB1_28 Depth=1
	s_and_not1_saveexec_b32 s17, s17
	s_cbranch_execz .LBB1_113
; %bb.102:                              ;   in Loop: Header=BB1_28 Depth=1
	s_mov_b32 s18, exec_lo
	v_cmpx_eq_u32_e32 34, v10
	s_cbranch_execz .LBB1_112
; %bb.103:                              ;   in Loop: Header=BB1_28 Depth=1
	global_load_b32 v5, v[118:119], off
	scratch_load_b64 v[6:7], off, off offset:32 ; 8-byte Folded Reload
                                        ; implicit-def: $vgpr68
                                        ; implicit-def: $vgpr25
	s_wait_loadcnt 0x1
	v_add_f32_e32 v5, v5, v5
	s_wait_loadcnt 0x0
	global_load_b32 v66, v[6:7], off
	v_mul_f32_e32 v67, 0x40490fdb, v5
	s_delay_alu instid0(VALU_DEP_1) | instskip(SKIP_1) | instid1(VALU_DEP_2)
	v_and_b32_e32 v24, 0x7fffffff, v67
	v_cmp_ngt_f32_e64 s19, 0x48000000, |v67|
	v_lshrrev_b32_e32 v5, 23, v24
	v_and_or_b32 v14, v24, s31, 0x800000
	s_delay_alu instid0(VALU_DEP_2) | instskip(SKIP_2) | instid1(SALU_CYCLE_1)
	v_add_nc_u32_e32 v69, 0xffffff88, v5
	s_wait_xcnt 0x0
	s_and_saveexec_b32 s8, s19
	s_xor_b32 s20, exec_lo, s8
	s_cbranch_execz .LBB1_105
; %bb.104:                              ;   in Loop: Header=BB1_28 Depth=1
	v_mul_u64_e32 v[6:7], s[28:29], v[14:15]
	v_mov_b32_e32 v9, v15
	v_cmp_lt_u32_e32 vcc_lo, 63, v69
	v_mov_b32_e32 v77, v15
	v_cndmask_b32_e64 v5, 0, 0xffffffc0, vcc_lo
	s_delay_alu instid0(VALU_DEP_1) | instskip(NEXT) | instid1(VALU_DEP_1)
	v_add_nc_u32_e32 v5, v5, v69
	v_cmp_lt_u32_e64 s8, 31, v5
	v_mov_b32_e32 v8, v7
	s_delay_alu instid0(VALU_DEP_2) | instskip(NEXT) | instid1(VALU_DEP_2)
	v_cndmask_b32_e64 v7, 0, 0xffffffe0, s8
	v_mad_nc_u64_u32 v[8:9], 0x3c439041, v14, v[8:9]
	s_delay_alu instid0(VALU_DEP_1) | instskip(NEXT) | instid1(VALU_DEP_1)
	v_dual_mov_b32 v11, v15 :: v_dual_mov_b32 v10, v9
	v_mad_nc_u64_u32 v[10:11], 0xdb629599, v14, v[10:11]
	s_delay_alu instid0(VALU_DEP_1) | instskip(NEXT) | instid1(VALU_DEP_1)
	v_dual_mov_b32 v71, v15 :: v_dual_mov_b32 v70, v11
	v_mad_nc_u64_u32 v[70:71], 0xf534ddc0, v14, v[70:71]
	s_delay_alu instid0(VALU_DEP_1) | instskip(NEXT) | instid1(VALU_DEP_1)
	v_dual_mov_b32 v73, v15 :: v_dual_mov_b32 v72, v71
	v_mad_nc_u64_u32 v[72:73], 0xfc2757d1, v14, v[72:73]
	s_delay_alu instid0(VALU_DEP_1) | instskip(NEXT) | instid1(VALU_DEP_2)
	v_dual_mov_b32 v75, v15 :: v_dual_mov_b32 v74, v73
	v_cndmask_b32_e32 v31, v72, v10, vcc_lo
	s_delay_alu instid0(VALU_DEP_2) | instskip(NEXT) | instid1(VALU_DEP_1)
	v_mad_nc_u64_u32 v[74:75], 0x4e441529, v14, v[74:75]
	v_dual_mov_b32 v76, v75 :: v_dual_cndmask_b32 v9, v74, v70
	s_delay_alu instid0(VALU_DEP_1) | instskip(NEXT) | instid1(VALU_DEP_1)
	v_mad_nc_u64_u32 v[76:77], 0xa2f9836e, v14, v[76:77]
	v_dual_add_nc_u32 v5, v7, v5 :: v_dual_cndmask_b32 v11, v76, v72, vcc_lo
	s_delay_alu instid0(VALU_DEP_1) | instskip(NEXT) | instid1(VALU_DEP_1)
	v_cmp_lt_u32_e64 s9, 31, v5
	v_cndmask_b32_e64 v7, 0, 0xffffffe0, s9
	s_delay_alu instid0(VALU_DEP_1) | instskip(NEXT) | instid1(VALU_DEP_4)
	v_dual_cndmask_b32 v25, v77, v74, vcc_lo :: v_dual_add_nc_u32 v5, v7, v5
	v_dual_cndmask_b32 v7, v70, v8, vcc_lo :: v_dual_cndmask_b32 v8, v11, v9, s8
	s_delay_alu instid0(VALU_DEP_2) | instskip(NEXT) | instid1(VALU_DEP_3)
	v_cndmask_b32_e64 v11, v25, v11, s8
	v_dual_cndmask_b32 v9, v9, v31, s8 :: v_dual_sub_nc_u32 v25, 32, v5
	s_delay_alu instid0(VALU_DEP_3) | instskip(NEXT) | instid1(VALU_DEP_2)
	v_cndmask_b32_e64 v31, v31, v7, s8
	v_dual_cndmask_b32 v11, v11, v8, s9 :: v_dual_cndmask_b32 v8, v8, v9, s9
	s_delay_alu instid0(VALU_DEP_2) | instskip(NEXT) | instid1(VALU_DEP_2)
	v_cndmask_b32_e64 v9, v9, v31, s9
	v_alignbit_b32 v68, v11, v8, v25
	v_cndmask_b32_e32 v6, v10, v6, vcc_lo
	v_cmp_eq_u32_e32 vcc_lo, 0, v5
	s_delay_alu instid0(VALU_DEP_4) | instskip(NEXT) | instid1(VALU_DEP_3)
	v_alignbit_b32 v10, v8, v9, v25
	v_dual_cndmask_b32 v5, v68, v11, vcc_lo :: v_dual_cndmask_b32 v6, v7, v6, s8
	s_delay_alu instid0(VALU_DEP_2) | instskip(NEXT) | instid1(VALU_DEP_2)
	v_cndmask_b32_e32 v7, v10, v8, vcc_lo
	v_bfe_u32 v8, v5, 29, 1
	s_delay_alu instid0(VALU_DEP_3) | instskip(NEXT) | instid1(VALU_DEP_3)
	v_cndmask_b32_e64 v6, v31, v6, s9
	v_alignbit_b32 v10, v5, v7, 30
	s_delay_alu instid0(VALU_DEP_3) | instskip(NEXT) | instid1(VALU_DEP_3)
	v_sub_nc_u32_e32 v11, 0, v8
	v_alignbit_b32 v25, v9, v6, v25
	s_delay_alu instid0(VALU_DEP_1) | instskip(NEXT) | instid1(VALU_DEP_1)
	v_dual_cndmask_b32 v9, v25, v9, vcc_lo :: v_dual_bitop2_b32 v10, v10, v11 bitop3:0x14
	v_clz_i32_u32_e32 v25, v10
	s_delay_alu instid0(VALU_DEP_2) | instskip(SKIP_1) | instid1(VALU_DEP_3)
	v_alignbit_b32 v7, v7, v9, 30
	v_alignbit_b32 v6, v9, v6, 30
	v_min_u32_e32 v25, 32, v25
	s_delay_alu instid0(VALU_DEP_3) | instskip(NEXT) | instid1(VALU_DEP_3)
	v_xor_b32_e32 v7, v7, v11
	v_dual_lshrrev_b32 v11, 29, v5 :: v_dual_bitop2_b32 v6, v6, v11 bitop3:0x14
	v_lshrrev_b32_e32 v5, 30, v5
	s_delay_alu instid0(VALU_DEP_4) | instskip(NEXT) | instid1(VALU_DEP_1)
	v_dual_sub_nc_u32 v9, 31, v25 :: v_dual_lshlrev_b32 v31, 23, v25
	v_alignbit_b32 v10, v10, v7, v9
	s_delay_alu instid0(VALU_DEP_4) | instskip(SKIP_1) | instid1(VALU_DEP_2)
	v_alignbit_b32 v6, v7, v6, v9
	v_lshlrev_b32_e32 v7, 31, v11
	v_alignbit_b32 v9, v10, v6, 9
	s_delay_alu instid0(VALU_DEP_2) | instskip(SKIP_1) | instid1(VALU_DEP_3)
	v_dual_lshrrev_b32 v10, 9, v10 :: v_dual_bitop2_b32 v11, 0.5, v7 bitop3:0x54
	v_or_b32_e32 v7, 0x33000000, v7
	v_clz_i32_u32_e32 v68, v9
	s_delay_alu instid0(VALU_DEP_3) | instskip(NEXT) | instid1(VALU_DEP_2)
	v_sub_nc_u32_e32 v11, v11, v31
	v_min_u32_e32 v31, 32, v68
	s_delay_alu instid0(VALU_DEP_1) | instskip(NEXT) | instid1(VALU_DEP_3)
	v_add_lshl_u32 v25, v31, v25, 23
	v_or_b32_e32 v10, v10, v11
	v_not_b32_e32 v11, v31
	s_delay_alu instid0(VALU_DEP_2) | instskip(NEXT) | instid1(VALU_DEP_2)
	v_dual_mul_f32 v68, 0x3fc90fda, v10 :: v_dual_sub_nc_u32 v7, v7, v25
	v_alignbit_b32 v6, v9, v6, v11
	s_delay_alu instid0(VALU_DEP_2) | instskip(NEXT) | instid1(VALU_DEP_2)
	v_fma_f32 v9, 0x3fc90fda, v10, -v68
	v_lshrrev_b32_e32 v6, 9, v6
	s_delay_alu instid0(VALU_DEP_2) | instskip(NEXT) | instid1(VALU_DEP_2)
	v_fmac_f32_e32 v9, 0x33a22168, v10
	v_or_b32_e32 v6, v7, v6
	s_delay_alu instid0(VALU_DEP_1) | instskip(NEXT) | instid1(VALU_DEP_1)
	v_fmac_f32_e32 v9, 0x3fc90fda, v6
	v_add_f32_e32 v25, v68, v9
	v_add_nc_u32_e32 v68, v8, v5
.LBB1_105:                              ;   in Loop: Header=BB1_28 Depth=1
	s_or_saveexec_b32 s8, s20
	v_mul_f32_e64 v5, 0x3f22f983, |v67|
	s_delay_alu instid0(VALU_DEP_1)
	v_rndne_f32_e32 v72, v5
	s_xor_b32 exec_lo, exec_lo, s8
; %bb.106:                              ;   in Loop: Header=BB1_28 Depth=1
	s_delay_alu instid0(VALU_DEP_1) | instskip(SKIP_1) | instid1(VALU_DEP_2)
	v_fma_f32 v25, 0xbfc90fda, v72, |v67|
	v_cvt_i32_f32_e32 v68, v72
	v_fmac_f32_e32 v25, 0xb3a22168, v72
	s_delay_alu instid0(VALU_DEP_1)
	v_fmac_f32_e32 v25, 0xa7c234c4, v72
; %bb.107:                              ;   in Loop: Header=BB1_28 Depth=1
	s_or_b32 exec_lo, exec_lo, s8
                                        ; implicit-def: $vgpr71
                                        ; implicit-def: $vgpr70
	s_and_saveexec_b32 s8, s19
	s_delay_alu instid0(SALU_CYCLE_1)
	s_xor_b32 s19, exec_lo, s8
	s_cbranch_execz .LBB1_109
; %bb.108:                              ;   in Loop: Header=BB1_28 Depth=1
	v_mul_u64_e32 v[6:7], s[28:29], v[14:15]
	v_mov_b32_e32 v9, v15
	v_cmp_lt_u32_e32 vcc_lo, 63, v69
	v_mov_b32_e32 v77, v15
	v_cndmask_b32_e64 v5, 0, 0xffffffc0, vcc_lo
	s_delay_alu instid0(VALU_DEP_1) | instskip(NEXT) | instid1(VALU_DEP_1)
	v_add_nc_u32_e32 v5, v5, v69
	v_cmp_lt_u32_e64 s8, 31, v5
	v_mov_b32_e32 v8, v7
	s_delay_alu instid0(VALU_DEP_2) | instskip(NEXT) | instid1(VALU_DEP_2)
	v_cndmask_b32_e64 v7, 0, 0xffffffe0, s8
	v_mad_nc_u64_u32 v[8:9], 0x3c439041, v14, v[8:9]
	s_delay_alu instid0(VALU_DEP_1) | instskip(NEXT) | instid1(VALU_DEP_1)
	v_dual_mov_b32 v11, v15 :: v_dual_mov_b32 v10, v9
	v_mad_nc_u64_u32 v[10:11], 0xdb629599, v14, v[10:11]
	s_delay_alu instid0(VALU_DEP_1) | instskip(NEXT) | instid1(VALU_DEP_1)
	v_dual_mov_b32 v71, v15 :: v_dual_mov_b32 v70, v11
	;; [unrolled: 3-line block ×3, first 2 shown]
	v_mad_nc_u64_u32 v[72:73], 0xfc2757d1, v14, v[72:73]
	s_delay_alu instid0(VALU_DEP_1) | instskip(NEXT) | instid1(VALU_DEP_2)
	v_dual_mov_b32 v75, v15 :: v_dual_mov_b32 v74, v73
	v_cndmask_b32_e32 v31, v72, v10, vcc_lo
	s_delay_alu instid0(VALU_DEP_2) | instskip(NEXT) | instid1(VALU_DEP_1)
	v_mad_nc_u64_u32 v[74:75], 0x4e441529, v14, v[74:75]
	v_dual_mov_b32 v76, v75 :: v_dual_cndmask_b32 v9, v74, v70
	s_delay_alu instid0(VALU_DEP_1) | instskip(NEXT) | instid1(VALU_DEP_1)
	v_mad_nc_u64_u32 v[76:77], 0xa2f9836e, v14, v[76:77]
	v_dual_add_nc_u32 v5, v7, v5 :: v_dual_cndmask_b32 v11, v76, v72, vcc_lo
	s_delay_alu instid0(VALU_DEP_1) | instskip(NEXT) | instid1(VALU_DEP_1)
	v_cmp_lt_u32_e64 s9, 31, v5
                                        ; implicit-def: $vgpr72
	v_cndmask_b32_e64 v7, 0, 0xffffffe0, s9
	s_delay_alu instid0(VALU_DEP_1) | instskip(NEXT) | instid1(VALU_DEP_4)
	v_dual_cndmask_b32 v14, v77, v74 :: v_dual_add_nc_u32 v5, v7, v5
	v_dual_cndmask_b32 v7, v70, v8, vcc_lo :: v_dual_cndmask_b32 v8, v11, v9, s8
	s_delay_alu instid0(VALU_DEP_2) | instskip(NEXT) | instid1(VALU_DEP_3)
	v_cndmask_b32_e64 v11, v14, v11, s8
	v_dual_cndmask_b32 v9, v9, v31, s8 :: v_dual_sub_nc_u32 v14, 32, v5
	s_delay_alu instid0(VALU_DEP_3) | instskip(NEXT) | instid1(VALU_DEP_2)
	v_cndmask_b32_e64 v31, v31, v7, s8
	v_dual_cndmask_b32 v11, v11, v8, s9 :: v_dual_cndmask_b32 v8, v8, v9, s9
	s_delay_alu instid0(VALU_DEP_2) | instskip(NEXT) | instid1(VALU_DEP_2)
	v_cndmask_b32_e64 v9, v9, v31, s9
	v_alignbit_b32 v69, v11, v8, v14
	v_cndmask_b32_e32 v6, v10, v6, vcc_lo
	v_cmp_eq_u32_e32 vcc_lo, 0, v5
	s_delay_alu instid0(VALU_DEP_4) | instskip(NEXT) | instid1(VALU_DEP_3)
	v_alignbit_b32 v10, v8, v9, v14
	v_dual_cndmask_b32 v5, v69, v11, vcc_lo :: v_dual_cndmask_b32 v6, v7, v6, s8
	s_delay_alu instid0(VALU_DEP_2) | instskip(NEXT) | instid1(VALU_DEP_2)
	v_cndmask_b32_e32 v7, v10, v8, vcc_lo
	v_bfe_u32 v8, v5, 29, 1
	s_delay_alu instid0(VALU_DEP_3) | instskip(NEXT) | instid1(VALU_DEP_3)
	v_cndmask_b32_e64 v6, v31, v6, s9
	v_alignbit_b32 v10, v5, v7, 30
	s_delay_alu instid0(VALU_DEP_3) | instskip(NEXT) | instid1(VALU_DEP_3)
	v_sub_nc_u32_e32 v11, 0, v8
	v_alignbit_b32 v14, v9, v6, v14
	s_delay_alu instid0(VALU_DEP_2) | instskip(NEXT) | instid1(VALU_DEP_2)
	v_xor_b32_e32 v10, v10, v11
	v_cndmask_b32_e32 v9, v14, v9, vcc_lo
	s_delay_alu instid0(VALU_DEP_2) | instskip(NEXT) | instid1(VALU_DEP_2)
	v_clz_i32_u32_e32 v14, v10
	v_alignbit_b32 v7, v7, v9, 30
	s_delay_alu instid0(VALU_DEP_2) | instskip(NEXT) | instid1(VALU_DEP_2)
	v_min_u32_e32 v14, 32, v14
	v_xor_b32_e32 v7, v7, v11
	v_alignbit_b32 v6, v9, v6, 30
	s_delay_alu instid0(VALU_DEP_3) | instskip(NEXT) | instid1(VALU_DEP_2)
	v_dual_sub_nc_u32 v9, 31, v14 :: v_dual_lshlrev_b32 v31, 23, v14
	v_dual_lshrrev_b32 v11, 29, v5 :: v_dual_bitop2_b32 v6, v6, v11 bitop3:0x14
	v_lshrrev_b32_e32 v5, 30, v5
	s_delay_alu instid0(VALU_DEP_3) | instskip(NEXT) | instid1(VALU_DEP_3)
	v_alignbit_b32 v10, v10, v7, v9
	v_alignbit_b32 v6, v7, v6, v9
	s_delay_alu instid0(VALU_DEP_3) | instskip(NEXT) | instid1(VALU_DEP_2)
	v_dual_lshlrev_b32 v7, 31, v11 :: v_dual_add_nc_u32 v71, v8, v5
	v_alignbit_b32 v9, v10, v6, 9
	s_delay_alu instid0(VALU_DEP_2) | instskip(SKIP_1) | instid1(VALU_DEP_3)
	v_dual_lshrrev_b32 v10, 9, v10 :: v_dual_bitop2_b32 v11, 0.5, v7 bitop3:0x54
	v_or_b32_e32 v7, 0x33000000, v7
	v_clz_i32_u32_e32 v69, v9
	s_delay_alu instid0(VALU_DEP_3) | instskip(NEXT) | instid1(VALU_DEP_2)
	v_sub_nc_u32_e32 v11, v11, v31
	v_min_u32_e32 v31, 32, v69
	s_delay_alu instid0(VALU_DEP_1) | instskip(NEXT) | instid1(VALU_DEP_3)
	v_add_lshl_u32 v14, v31, v14, 23
	v_or_b32_e32 v10, v10, v11
	v_not_b32_e32 v11, v31
	s_delay_alu instid0(VALU_DEP_3) | instskip(NEXT) | instid1(VALU_DEP_3)
	v_sub_nc_u32_e32 v7, v7, v14
	v_mul_f32_e32 v69, 0x3fc90fda, v10
	s_delay_alu instid0(VALU_DEP_3) | instskip(NEXT) | instid1(VALU_DEP_2)
	v_alignbit_b32 v6, v9, v6, v11
	v_fma_f32 v9, 0x3fc90fda, v10, -v69
	s_delay_alu instid0(VALU_DEP_2) | instskip(NEXT) | instid1(VALU_DEP_2)
	v_lshrrev_b32_e32 v6, 9, v6
	v_fmac_f32_e32 v9, 0x33a22168, v10
	s_delay_alu instid0(VALU_DEP_2) | instskip(NEXT) | instid1(VALU_DEP_1)
	v_or_b32_e32 v6, v7, v6
	v_fmac_f32_e32 v9, 0x3fc90fda, v6
	s_delay_alu instid0(VALU_DEP_1)
	v_add_f32_e32 v70, v69, v9
	s_and_not1_saveexec_b32 s8, s19
	s_cbranch_execnz .LBB1_110
	s_branch .LBB1_111
.LBB1_109:                              ;   in Loop: Header=BB1_28 Depth=1
	s_and_not1_saveexec_b32 s8, s19
.LBB1_110:                              ;   in Loop: Header=BB1_28 Depth=1
	v_fma_f32 v70, 0xbfc90fda, v72, |v67|
	v_cvt_i32_f32_e32 v71, v72
	s_delay_alu instid0(VALU_DEP_2) | instskip(NEXT) | instid1(VALU_DEP_1)
	v_fmac_f32_e32 v70, 0xb3a22168, v72
	v_fmac_f32_e32 v70, 0xa7c234c4, v72
.LBB1_111:                              ;   in Loop: Header=BB1_28 Depth=1
	s_or_b32 exec_lo, exec_lo, s8
	s_delay_alu instid0(VALU_DEP_1) | instskip(SKIP_1) | instid1(VALU_DEP_2)
	v_dual_mul_f32 v5, v25, v25 :: v_dual_mul_f32 v6, v70, v70
	v_dual_lshlrev_b32 v8, 30, v68 :: v_dual_bitop2_b32 v7, 1, v68 bitop3:0x40
	v_dual_fmaak_f32 v9, s30, v5, 0x3c0881c4 :: v_dual_lshlrev_b32 v68, 30, v71
	s_delay_alu instid0(VALU_DEP_3) | instskip(NEXT) | instid1(VALU_DEP_3)
	v_fmaak_f32 v11, s30, v6, 0x3c0881c4
	v_cmp_eq_u32_e32 vcc_lo, 0, v7
	s_delay_alu instid0(VALU_DEP_2) | instskip(NEXT) | instid1(VALU_DEP_1)
	v_fmaak_f32 v11, v6, v11, 0xbe2aaa9d
	v_dual_fmaak_f32 v10, s34, v5, 0xbab64f3b :: v_dual_mul_f32 v11, v6, v11
	v_fmaak_f32 v9, v5, v9, 0xbe2aaa9d
	s_delay_alu instid0(VALU_DEP_2) | instskip(NEXT) | instid1(VALU_DEP_3)
	v_fmaak_f32 v10, v5, v10, 0x3d2aabf7
	v_fmac_f32_e32 v70, v70, v11
	s_delay_alu instid0(VALU_DEP_3) | instskip(NEXT) | instid1(VALU_DEP_3)
	v_dual_fmaak_f32 v14, s34, v6, 0xbab64f3b :: v_dual_mul_f32 v9, v5, v9
	v_fmaak_f32 v10, v5, v10, 0xbf000004
	v_and_b32_e32 v31, 1, v71
	s_delay_alu instid0(VALU_DEP_3) | instskip(NEXT) | instid1(VALU_DEP_3)
	v_dual_fmaak_f32 v14, v6, v14, 0x3d2aabf7 :: v_dual_fmac_f32 v25, v25, v9
	v_fma_f32 v5, v5, v10, 1.0
	v_xor_b32_e32 v24, v24, v67
	v_and_b32_e32 v9, 0x80000000, v68
	s_delay_alu instid0(VALU_DEP_4) | instskip(NEXT) | instid1(VALU_DEP_4)
	v_fmaak_f32 v14, v6, v14, 0xbf000004
	v_cndmask_b32_e64 v5, -v25, v5, vcc_lo
	v_cmp_eq_u32_e32 vcc_lo, 0, v31
	s_delay_alu instid0(VALU_DEP_3) | instskip(NEXT) | instid1(VALU_DEP_3)
	v_fma_f32 v6, v6, v14, 1.0
	v_bitop3_b32 v5, v8, v5, 0x80000000 bitop3:0x6c
	s_delay_alu instid0(VALU_DEP_2) | instskip(SKIP_1) | instid1(VALU_DEP_2)
	v_cndmask_b32_e32 v6, v6, v70, vcc_lo
	v_cmp_class_f32_e64 vcc_lo, v67, 0x1f8
	v_xor3_b32 v6, v24, v9, v6
	s_delay_alu instid0(VALU_DEP_4) | instskip(SKIP_1) | instid1(VALU_DEP_1)
	v_cndmask_b32_e32 v5, 0x7fc00000, v5, vcc_lo
	s_wait_loadcnt 0x0
	v_dual_cndmask_b32 v6, 0x7fc00000, v6 :: v_dual_mul_f32 v67, v66, v5
	s_delay_alu instid0(VALU_DEP_1)
	v_mul_f32_e32 v66, v66, v6
.LBB1_112:                              ;   in Loop: Header=BB1_28 Depth=1
	s_or_b32 exec_lo, exec_lo, s18
.LBB1_113:                              ;   in Loop: Header=BB1_28 Depth=1
	s_delay_alu instid0(SALU_CYCLE_1)
	s_or_b32 exec_lo, exec_lo, s17
.LBB1_114:                              ;   in Loop: Header=BB1_28 Depth=1
	s_delay_alu instid0(SALU_CYCLE_1)
	s_or_b32 exec_lo, exec_lo, s16
.LBB1_115:                              ;   in Loop: Header=BB1_28 Depth=1
	s_delay_alu instid0(SALU_CYCLE_1)
	s_or_b32 exec_lo, exec_lo, s15
                                        ; implicit-def: $vgpr10
.LBB1_116:                              ;   in Loop: Header=BB1_28 Depth=1
	s_and_not1_saveexec_b32 s12, s12
	s_cbranch_execz .LBB1_174
; %bb.117:                              ;   in Loop: Header=BB1_28 Depth=1
	s_mov_b32 s8, exec_lo
	v_cmpx_lt_i32_e32 21, v10
	s_xor_b32 s15, exec_lo, s8
	s_cbranch_execz .LBB1_155
; %bb.118:                              ;   in Loop: Header=BB1_28 Depth=1
	s_mov_b32 s8, exec_lo
	v_cmpx_lt_i32_e32 27, v10
	s_xor_b32 s16, exec_lo, s8
	;; [unrolled: 5-line block ×4, first 2 shown]
	s_cbranch_execz .LBB1_132
; %bb.121:                              ;   in Loop: Header=BB1_28 Depth=1
	s_mov_b32 s19, exec_lo
	v_cmpx_eq_u32_e32 31, v10
	s_cbranch_execz .LBB1_131
; %bb.122:                              ;   in Loop: Header=BB1_28 Depth=1
	global_load_b32 v5, v[118:119], off
	scratch_load_b64 v[6:7], off, off offset:32 ; 8-byte Folded Reload
                                        ; implicit-def: $vgpr70
                                        ; implicit-def: $vgpr25
	s_wait_loadcnt 0x1
	v_add_f32_e32 v5, v5, v5
	s_wait_loadcnt 0x0
	global_load_b32 v68, v[6:7], off
	v_mul_f32_e32 v69, 0x40490fdb, v5
	s_delay_alu instid0(VALU_DEP_1) | instskip(SKIP_1) | instid1(VALU_DEP_2)
	v_and_b32_e32 v24, 0x7fffffff, v69
	v_cmp_ngt_f32_e64 s20, 0x48000000, |v69|
	v_lshrrev_b32_e32 v5, 23, v24
	v_and_or_b32 v14, v24, s31, 0x800000
	s_delay_alu instid0(VALU_DEP_2) | instskip(SKIP_2) | instid1(SALU_CYCLE_1)
	v_add_nc_u32_e32 v71, 0xffffff88, v5
	s_wait_xcnt 0x0
	s_and_saveexec_b32 s8, s20
	s_xor_b32 s21, exec_lo, s8
	s_cbranch_execz .LBB1_124
; %bb.123:                              ;   in Loop: Header=BB1_28 Depth=1
	v_mul_u64_e32 v[6:7], s[28:29], v[14:15]
	v_mov_b32_e32 v9, v15
	v_cmp_lt_u32_e32 vcc_lo, 63, v71
	v_mov_b32_e32 v79, v15
	v_cndmask_b32_e64 v5, 0, 0xffffffc0, vcc_lo
	s_delay_alu instid0(VALU_DEP_1) | instskip(NEXT) | instid1(VALU_DEP_1)
	v_add_nc_u32_e32 v5, v5, v71
	v_cmp_lt_u32_e64 s8, 31, v5
	v_mov_b32_e32 v8, v7
	s_delay_alu instid0(VALU_DEP_2) | instskip(NEXT) | instid1(VALU_DEP_2)
	v_cndmask_b32_e64 v7, 0, 0xffffffe0, s8
	v_mad_nc_u64_u32 v[8:9], 0x3c439041, v14, v[8:9]
	v_mov_b32_e32 v11, v15
	s_delay_alu instid0(VALU_DEP_3) | instskip(NEXT) | instid1(VALU_DEP_1)
	v_add_nc_u32_e32 v5, v7, v5
	v_cmp_lt_u32_e64 s9, 31, v5
	s_delay_alu instid0(VALU_DEP_4) | instskip(NEXT) | instid1(VALU_DEP_2)
	v_mov_b32_e32 v10, v9
	v_cndmask_b32_e64 v7, 0, 0xffffffe0, s9
	s_delay_alu instid0(VALU_DEP_2) | instskip(NEXT) | instid1(VALU_DEP_1)
	v_mad_nc_u64_u32 v[10:11], 0xdb629599, v14, v[10:11]
	v_dual_mov_b32 v73, v15 :: v_dual_mov_b32 v72, v11
	s_delay_alu instid0(VALU_DEP_1) | instskip(SKIP_1) | instid1(VALU_DEP_2)
	v_mad_nc_u64_u32 v[72:73], 0xf534ddc0, v14, v[72:73]
	v_mov_b32_e32 v75, v15
	v_dual_add_nc_u32 v5, v7, v5 :: v_dual_cndmask_b32 v7, v72, v8, vcc_lo
	s_delay_alu instid0(VALU_DEP_3) | instskip(NEXT) | instid1(VALU_DEP_1)
	v_mov_b32_e32 v74, v73
	v_mad_nc_u64_u32 v[74:75], 0xfc2757d1, v14, v[74:75]
	s_delay_alu instid0(VALU_DEP_1) | instskip(NEXT) | instid1(VALU_DEP_2)
	v_dual_mov_b32 v77, v15 :: v_dual_mov_b32 v76, v75
	v_cndmask_b32_e32 v31, v74, v10, vcc_lo
	s_delay_alu instid0(VALU_DEP_2) | instskip(NEXT) | instid1(VALU_DEP_1)
	v_mad_nc_u64_u32 v[76:77], 0x4e441529, v14, v[76:77]
	v_mov_b32_e32 v78, v77
	s_delay_alu instid0(VALU_DEP_1) | instskip(NEXT) | instid1(VALU_DEP_1)
	v_mad_nc_u64_u32 v[78:79], 0xa2f9836e, v14, v[78:79]
	v_dual_cndmask_b32 v9, v76, v72, vcc_lo :: v_dual_cndmask_b32 v11, v78, v74, vcc_lo
	s_delay_alu instid0(VALU_DEP_2) | instskip(NEXT) | instid1(VALU_DEP_1)
	v_cndmask_b32_e32 v25, v79, v76, vcc_lo
	v_dual_cndmask_b32 v8, v11, v9, s8 :: v_dual_cndmask_b32 v11, v25, v11, s8
	v_dual_cndmask_b32 v9, v9, v31, s8 :: v_dual_sub_nc_u32 v25, 32, v5
	v_cndmask_b32_e64 v31, v31, v7, s8
	s_delay_alu instid0(VALU_DEP_2) | instskip(NEXT) | instid1(VALU_DEP_2)
	v_dual_cndmask_b32 v11, v11, v8, s9 :: v_dual_cndmask_b32 v8, v8, v9, s9
	v_dual_cndmask_b32 v6, v10, v6, vcc_lo :: v_dual_cndmask_b32 v9, v9, v31, s9
	v_cmp_eq_u32_e32 vcc_lo, 0, v5
	s_delay_alu instid0(VALU_DEP_3) | instskip(NEXT) | instid1(VALU_DEP_3)
	v_alignbit_b32 v70, v11, v8, v25
	v_cndmask_b32_e64 v6, v7, v6, s8
	s_delay_alu instid0(VALU_DEP_4) | instskip(NEXT) | instid1(VALU_DEP_3)
	v_alignbit_b32 v10, v8, v9, v25
	v_cndmask_b32_e32 v5, v70, v11, vcc_lo
	s_delay_alu instid0(VALU_DEP_2) | instskip(NEXT) | instid1(VALU_DEP_2)
	v_cndmask_b32_e32 v7, v10, v8, vcc_lo
	v_bfe_u32 v8, v5, 29, 1
	v_cndmask_b32_e64 v6, v31, v6, s9
	s_delay_alu instid0(VALU_DEP_3) | instskip(NEXT) | instid1(VALU_DEP_3)
	v_alignbit_b32 v10, v5, v7, 30
	v_sub_nc_u32_e32 v11, 0, v8
	s_delay_alu instid0(VALU_DEP_3) | instskip(NEXT) | instid1(VALU_DEP_1)
	v_alignbit_b32 v25, v9, v6, v25
	v_dual_cndmask_b32 v9, v25, v9, vcc_lo :: v_dual_bitop2_b32 v10, v10, v11 bitop3:0x14
	s_delay_alu instid0(VALU_DEP_1) | instskip(NEXT) | instid1(VALU_DEP_2)
	v_clz_i32_u32_e32 v25, v10
	v_alignbit_b32 v7, v7, v9, 30
	v_alignbit_b32 v6, v9, v6, 30
	s_delay_alu instid0(VALU_DEP_3) | instskip(NEXT) | instid1(VALU_DEP_3)
	v_min_u32_e32 v25, 32, v25
	v_xor_b32_e32 v7, v7, v11
	s_delay_alu instid0(VALU_DEP_3) | instskip(SKIP_1) | instid1(VALU_DEP_4)
	v_dual_lshrrev_b32 v11, 29, v5 :: v_dual_bitop2_b32 v6, v6, v11 bitop3:0x14
	v_lshrrev_b32_e32 v5, 30, v5
	v_dual_sub_nc_u32 v9, 31, v25 :: v_dual_lshlrev_b32 v31, 23, v25
	s_delay_alu instid0(VALU_DEP_1) | instskip(NEXT) | instid1(VALU_DEP_4)
	v_alignbit_b32 v10, v10, v7, v9
	v_alignbit_b32 v6, v7, v6, v9
	v_lshlrev_b32_e32 v7, 31, v11
	s_delay_alu instid0(VALU_DEP_2) | instskip(NEXT) | instid1(VALU_DEP_2)
	v_alignbit_b32 v9, v10, v6, 9
	v_dual_lshrrev_b32 v10, 9, v10 :: v_dual_bitop2_b32 v11, 0.5, v7 bitop3:0x54
	v_or_b32_e32 v7, 0x33000000, v7
	s_delay_alu instid0(VALU_DEP_3) | instskip(NEXT) | instid1(VALU_DEP_3)
	v_clz_i32_u32_e32 v70, v9
	v_sub_nc_u32_e32 v11, v11, v31
	s_delay_alu instid0(VALU_DEP_2) | instskip(NEXT) | instid1(VALU_DEP_1)
	v_min_u32_e32 v31, 32, v70
	v_add_lshl_u32 v25, v31, v25, 23
	s_delay_alu instid0(VALU_DEP_3) | instskip(SKIP_1) | instid1(VALU_DEP_2)
	v_or_b32_e32 v10, v10, v11
	v_not_b32_e32 v11, v31
	v_dual_mul_f32 v70, 0x3fc90fda, v10 :: v_dual_sub_nc_u32 v7, v7, v25
	s_delay_alu instid0(VALU_DEP_2) | instskip(NEXT) | instid1(VALU_DEP_2)
	v_alignbit_b32 v6, v9, v6, v11
	v_fma_f32 v9, 0x3fc90fda, v10, -v70
	s_delay_alu instid0(VALU_DEP_2) | instskip(NEXT) | instid1(VALU_DEP_2)
	v_lshrrev_b32_e32 v6, 9, v6
	v_fmac_f32_e32 v9, 0x33a22168, v10
	s_delay_alu instid0(VALU_DEP_2) | instskip(NEXT) | instid1(VALU_DEP_1)
	v_or_b32_e32 v6, v7, v6
	v_fmac_f32_e32 v9, 0x3fc90fda, v6
	s_delay_alu instid0(VALU_DEP_1)
	v_add_f32_e32 v25, v70, v9
	v_add_nc_u32_e32 v70, v8, v5
.LBB1_124:                              ;   in Loop: Header=BB1_28 Depth=1
	s_or_saveexec_b32 s8, s21
	v_mul_f32_e64 v5, 0x3f22f983, |v69|
	s_delay_alu instid0(VALU_DEP_1)
	v_rndne_f32_e32 v74, v5
	s_xor_b32 exec_lo, exec_lo, s8
; %bb.125:                              ;   in Loop: Header=BB1_28 Depth=1
	s_delay_alu instid0(VALU_DEP_1) | instskip(SKIP_1) | instid1(VALU_DEP_2)
	v_fma_f32 v25, 0xbfc90fda, v74, |v69|
	v_cvt_i32_f32_e32 v70, v74
	v_fmac_f32_e32 v25, 0xb3a22168, v74
	s_delay_alu instid0(VALU_DEP_1)
	v_fmac_f32_e32 v25, 0xa7c234c4, v74
; %bb.126:                              ;   in Loop: Header=BB1_28 Depth=1
	s_or_b32 exec_lo, exec_lo, s8
                                        ; implicit-def: $vgpr73
                                        ; implicit-def: $vgpr72
	s_and_saveexec_b32 s8, s20
	s_delay_alu instid0(SALU_CYCLE_1)
	s_xor_b32 s20, exec_lo, s8
	s_cbranch_execz .LBB1_128
; %bb.127:                              ;   in Loop: Header=BB1_28 Depth=1
	v_mul_u64_e32 v[6:7], s[28:29], v[14:15]
	v_mov_b32_e32 v9, v15
	v_cmp_lt_u32_e32 vcc_lo, 63, v71
	v_mov_b32_e32 v79, v15
	v_cndmask_b32_e64 v5, 0, 0xffffffc0, vcc_lo
	s_delay_alu instid0(VALU_DEP_1) | instskip(NEXT) | instid1(VALU_DEP_1)
	v_add_nc_u32_e32 v5, v5, v71
	v_cmp_lt_u32_e64 s8, 31, v5
	v_mov_b32_e32 v8, v7
	s_delay_alu instid0(VALU_DEP_2) | instskip(NEXT) | instid1(VALU_DEP_2)
	v_cndmask_b32_e64 v7, 0, 0xffffffe0, s8
	v_mad_nc_u64_u32 v[8:9], 0x3c439041, v14, v[8:9]
	v_mov_b32_e32 v11, v15
	s_delay_alu instid0(VALU_DEP_3) | instskip(NEXT) | instid1(VALU_DEP_1)
	v_add_nc_u32_e32 v5, v7, v5
	v_cmp_lt_u32_e64 s9, 31, v5
	s_delay_alu instid0(VALU_DEP_4) | instskip(NEXT) | instid1(VALU_DEP_2)
	v_mov_b32_e32 v10, v9
	v_cndmask_b32_e64 v7, 0, 0xffffffe0, s9
	s_delay_alu instid0(VALU_DEP_2) | instskip(NEXT) | instid1(VALU_DEP_1)
	v_mad_nc_u64_u32 v[10:11], 0xdb629599, v14, v[10:11]
	v_dual_mov_b32 v73, v15 :: v_dual_mov_b32 v72, v11
	s_delay_alu instid0(VALU_DEP_1) | instskip(SKIP_1) | instid1(VALU_DEP_2)
	v_mad_nc_u64_u32 v[72:73], 0xf534ddc0, v14, v[72:73]
	v_mov_b32_e32 v75, v15
	v_dual_add_nc_u32 v5, v7, v5 :: v_dual_cndmask_b32 v7, v72, v8, vcc_lo
	s_delay_alu instid0(VALU_DEP_3) | instskip(NEXT) | instid1(VALU_DEP_1)
	v_mov_b32_e32 v74, v73
	v_mad_nc_u64_u32 v[74:75], 0xfc2757d1, v14, v[74:75]
	s_delay_alu instid0(VALU_DEP_1) | instskip(NEXT) | instid1(VALU_DEP_2)
	v_dual_mov_b32 v77, v15 :: v_dual_mov_b32 v76, v75
	v_cndmask_b32_e32 v31, v74, v10, vcc_lo
	s_delay_alu instid0(VALU_DEP_2) | instskip(NEXT) | instid1(VALU_DEP_1)
	v_mad_nc_u64_u32 v[76:77], 0x4e441529, v14, v[76:77]
	v_mov_b32_e32 v78, v77
	s_delay_alu instid0(VALU_DEP_1) | instskip(NEXT) | instid1(VALU_DEP_1)
	v_mad_nc_u64_u32 v[78:79], 0xa2f9836e, v14, v[78:79]
	v_dual_cndmask_b32 v9, v76, v72, vcc_lo :: v_dual_cndmask_b32 v11, v78, v74, vcc_lo
	s_delay_alu instid0(VALU_DEP_2) | instskip(NEXT) | instid1(VALU_DEP_1)
	v_cndmask_b32_e32 v14, v79, v76, vcc_lo
                                        ; implicit-def: $vgpr74
	v_dual_cndmask_b32 v8, v11, v9, s8 :: v_dual_cndmask_b32 v11, v14, v11, s8
	v_dual_cndmask_b32 v9, v9, v31, s8 :: v_dual_sub_nc_u32 v14, 32, v5
	v_cndmask_b32_e64 v31, v31, v7, s8
	s_delay_alu instid0(VALU_DEP_2) | instskip(NEXT) | instid1(VALU_DEP_2)
	v_dual_cndmask_b32 v11, v11, v8, s9 :: v_dual_cndmask_b32 v8, v8, v9, s9
	v_cndmask_b32_e64 v9, v9, v31, s9
	s_delay_alu instid0(VALU_DEP_2) | instskip(SKIP_2) | instid1(VALU_DEP_4)
	v_alignbit_b32 v71, v11, v8, v14
	v_cndmask_b32_e32 v6, v10, v6, vcc_lo
	v_cmp_eq_u32_e32 vcc_lo, 0, v5
	v_alignbit_b32 v10, v8, v9, v14
	s_delay_alu instid0(VALU_DEP_4) | instskip(NEXT) | instid1(VALU_DEP_2)
	v_cndmask_b32_e32 v5, v71, v11, vcc_lo
	v_dual_cndmask_b32 v6, v7, v6, s8 :: v_dual_cndmask_b32 v7, v10, v8, vcc_lo
	s_delay_alu instid0(VALU_DEP_2) | instskip(NEXT) | instid1(VALU_DEP_2)
	v_bfe_u32 v8, v5, 29, 1
	v_cndmask_b32_e64 v6, v31, v6, s9
	s_delay_alu instid0(VALU_DEP_3) | instskip(NEXT) | instid1(VALU_DEP_3)
	v_alignbit_b32 v10, v5, v7, 30
	v_sub_nc_u32_e32 v11, 0, v8
	s_delay_alu instid0(VALU_DEP_3) | instskip(NEXT) | instid1(VALU_DEP_2)
	v_alignbit_b32 v14, v9, v6, v14
	v_xor_b32_e32 v10, v10, v11
	s_delay_alu instid0(VALU_DEP_2) | instskip(NEXT) | instid1(VALU_DEP_2)
	v_cndmask_b32_e32 v9, v14, v9, vcc_lo
	v_clz_i32_u32_e32 v14, v10
	s_delay_alu instid0(VALU_DEP_2) | instskip(NEXT) | instid1(VALU_DEP_2)
	v_alignbit_b32 v7, v7, v9, 30
	v_min_u32_e32 v14, 32, v14
	s_delay_alu instid0(VALU_DEP_2) | instskip(SKIP_1) | instid1(VALU_DEP_3)
	v_xor_b32_e32 v7, v7, v11
	v_alignbit_b32 v6, v9, v6, 30
	v_dual_sub_nc_u32 v9, 31, v14 :: v_dual_lshlrev_b32 v31, 23, v14
	s_delay_alu instid0(VALU_DEP_2) | instskip(SKIP_1) | instid1(VALU_DEP_3)
	v_dual_lshrrev_b32 v11, 29, v5 :: v_dual_bitop2_b32 v6, v6, v11 bitop3:0x14
	v_lshrrev_b32_e32 v5, 30, v5
	v_alignbit_b32 v10, v10, v7, v9
	s_delay_alu instid0(VALU_DEP_3) | instskip(NEXT) | instid1(VALU_DEP_3)
	v_alignbit_b32 v6, v7, v6, v9
	v_dual_lshlrev_b32 v7, 31, v11 :: v_dual_add_nc_u32 v73, v8, v5
	s_delay_alu instid0(VALU_DEP_2) | instskip(NEXT) | instid1(VALU_DEP_2)
	v_alignbit_b32 v9, v10, v6, 9
	v_dual_lshrrev_b32 v10, 9, v10 :: v_dual_bitop2_b32 v11, 0.5, v7 bitop3:0x54
	v_or_b32_e32 v7, 0x33000000, v7
	s_delay_alu instid0(VALU_DEP_3) | instskip(NEXT) | instid1(VALU_DEP_3)
	v_clz_i32_u32_e32 v71, v9
	v_sub_nc_u32_e32 v11, v11, v31
	s_delay_alu instid0(VALU_DEP_2) | instskip(NEXT) | instid1(VALU_DEP_1)
	v_min_u32_e32 v31, 32, v71
	v_add_lshl_u32 v14, v31, v14, 23
	s_delay_alu instid0(VALU_DEP_3) | instskip(SKIP_1) | instid1(VALU_DEP_3)
	v_or_b32_e32 v10, v10, v11
	v_not_b32_e32 v11, v31
	v_sub_nc_u32_e32 v7, v7, v14
	s_delay_alu instid0(VALU_DEP_3) | instskip(NEXT) | instid1(VALU_DEP_3)
	v_mul_f32_e32 v71, 0x3fc90fda, v10
	v_alignbit_b32 v6, v9, v6, v11
	s_delay_alu instid0(VALU_DEP_2) | instskip(NEXT) | instid1(VALU_DEP_2)
	v_fma_f32 v9, 0x3fc90fda, v10, -v71
	v_lshrrev_b32_e32 v6, 9, v6
	s_delay_alu instid0(VALU_DEP_2) | instskip(NEXT) | instid1(VALU_DEP_2)
	v_fmac_f32_e32 v9, 0x33a22168, v10
	v_or_b32_e32 v6, v7, v6
	s_delay_alu instid0(VALU_DEP_1) | instskip(NEXT) | instid1(VALU_DEP_1)
	v_fmac_f32_e32 v9, 0x3fc90fda, v6
	v_add_f32_e32 v72, v71, v9
	s_and_not1_saveexec_b32 s8, s20
	s_cbranch_execnz .LBB1_129
	s_branch .LBB1_130
.LBB1_128:                              ;   in Loop: Header=BB1_28 Depth=1
	s_and_not1_saveexec_b32 s8, s20
.LBB1_129:                              ;   in Loop: Header=BB1_28 Depth=1
	v_fma_f32 v72, 0xbfc90fda, v74, |v69|
	v_cvt_i32_f32_e32 v73, v74
	s_delay_alu instid0(VALU_DEP_2) | instskip(NEXT) | instid1(VALU_DEP_1)
	v_fmac_f32_e32 v72, 0xb3a22168, v74
	v_fmac_f32_e32 v72, 0xa7c234c4, v74
.LBB1_130:                              ;   in Loop: Header=BB1_28 Depth=1
	s_or_b32 exec_lo, exec_lo, s8
	s_delay_alu instid0(VALU_DEP_1) | instskip(SKIP_2) | instid1(VALU_DEP_3)
	v_dual_mul_f32 v5, v25, v25 :: v_dual_mul_f32 v6, v72, v72
	v_dual_lshlrev_b32 v8, 30, v70 :: v_dual_bitop2_b32 v7, 1, v70 bitop3:0x40
	v_xor_b32_e32 v24, v24, v69
	v_dual_fmaak_f32 v11, s30, v6, 0x3c0881c4 :: v_dual_lshlrev_b32 v70, 30, v73
	s_delay_alu instid0(VALU_DEP_3) | instskip(SKIP_2) | instid1(VALU_DEP_3)
	v_cmp_eq_u32_e32 vcc_lo, 0, v7
	s_wait_loadcnt 0x0
	v_mul_f32_e32 v7, v67, v68
	v_fmaak_f32 v11, v6, v11, 0xbe2aaa9d
	s_delay_alu instid0(VALU_DEP_1) | instskip(SKIP_1) | instid1(VALU_DEP_2)
	v_dual_fmaak_f32 v10, s34, v5, 0xbab64f3b :: v_dual_mul_f32 v11, v6, v11
	v_fmaak_f32 v9, s30, v5, 0x3c0881c4
	v_fmaak_f32 v10, v5, v10, 0x3d2aabf7
	s_delay_alu instid0(VALU_DEP_2) | instskip(SKIP_1) | instid1(VALU_DEP_2)
	v_dual_fmac_f32 v72, v72, v11 :: v_dual_fmaak_f32 v9, v5, v9, 0xbe2aaa9d
	v_fmaak_f32 v14, s34, v6, 0xbab64f3b
	v_dual_fmaak_f32 v10, v5, v10, 0xbf000004 :: v_dual_mul_f32 v9, v5, v9
	s_delay_alu instid0(VALU_DEP_2) | instskip(NEXT) | instid1(VALU_DEP_2)
	v_fmaak_f32 v14, v6, v14, 0x3d2aabf7
	v_fma_f32 v5, v5, v10, 1.0
	s_delay_alu instid0(VALU_DEP_2) | instskip(SKIP_1) | instid1(VALU_DEP_2)
	v_dual_fmac_f32 v25, v25, v9 :: v_dual_fmaak_f32 v14, v6, v14, 0xbf000004
	v_and_b32_e32 v9, 0x80000000, v70
	v_cndmask_b32_e64 v5, -v25, v5, vcc_lo
	s_delay_alu instid0(VALU_DEP_3) | instskip(SKIP_1) | instid1(VALU_DEP_3)
	v_fma_f32 v6, v6, v14, 1.0
	v_and_b32_e32 v31, 1, v73
	v_bitop3_b32 v5, v8, v5, 0x80000000 bitop3:0x6c
	v_mul_f32_e32 v8, v66, v68
	s_delay_alu instid0(VALU_DEP_3) | instskip(SKIP_2) | instid1(VALU_DEP_2)
	v_cmp_eq_u32_e32 vcc_lo, 0, v31
	v_cndmask_b32_e32 v6, v6, v72, vcc_lo
	v_cmp_class_f32_e64 vcc_lo, v69, 0x1f8
	v_xor3_b32 v6, v24, v9, v6
	v_cndmask_b32_e32 v5, 0x7fc00000, v5, vcc_lo
	s_delay_alu instid0(VALU_DEP_1) | instskip(NEXT) | instid1(VALU_DEP_1)
	v_dual_cndmask_b32 v6, 0x7fc00000, v6 :: v_dual_mul_f32 v67, v7, v5
	v_mul_f32_e32 v66, v8, v6
.LBB1_131:                              ;   in Loop: Header=BB1_28 Depth=1
	s_or_b32 exec_lo, exec_lo, s19
                                        ; implicit-def: $vgpr10
.LBB1_132:                              ;   in Loop: Header=BB1_28 Depth=1
	s_and_not1_saveexec_b32 s8, s18
	s_cbranch_execz .LBB1_136
; %bb.133:                              ;   in Loop: Header=BB1_28 Depth=1
	s_mov_b32 s9, exec_lo
	v_cmpx_eq_u32_e32 29, v10
	s_cbranch_execz .LBB1_135
; %bb.134:                              ;   in Loop: Header=BB1_28 Depth=1
	s_wait_loadcnt 0x0
	v_dual_mov_b32 v67, v84 :: v_dual_mov_b32 v66, v18
.LBB1_135:                              ;   in Loop: Header=BB1_28 Depth=1
	s_or_b32 exec_lo, exec_lo, s9
.LBB1_136:                              ;   in Loop: Header=BB1_28 Depth=1
	s_delay_alu instid0(SALU_CYCLE_1)
	s_or_b32 exec_lo, exec_lo, s8
.LBB1_137:                              ;   in Loop: Header=BB1_28 Depth=1
	s_and_not1_saveexec_b32 s8, s17
	s_cbranch_execz .LBB1_139
; %bb.138:                              ;   in Loop: Header=BB1_28 Depth=1
	s_wait_loadcnt 0x0
	v_dual_mov_b32 v67, v27 :: v_dual_mov_b32 v66, v26
.LBB1_139:                              ;   in Loop: Header=BB1_28 Depth=1
	s_or_b32 exec_lo, exec_lo, s8
                                        ; implicit-def: $vgpr10
.LBB1_140:                              ;   in Loop: Header=BB1_28 Depth=1
	s_and_not1_saveexec_b32 s9, s16
	s_cbranch_execz .LBB1_154
; %bb.141:                              ;   in Loop: Header=BB1_28 Depth=1
	s_mov_b32 s8, exec_lo
	v_cmpx_lt_i32_e32 26, v10
	s_xor_b32 s8, exec_lo, s8
; %bb.142:                              ;   in Loop: Header=BB1_28 Depth=1
                                        ; implicit-def: $vgpr67
                                        ; implicit-def: $vgpr10
; %bb.143:                              ;   in Loop: Header=BB1_28 Depth=1
	s_delay_alu instid0(SALU_CYCLE_1)
	s_or_saveexec_b32 s16, s8
	v_dual_mov_b32 v24, v28 :: v_dual_mov_b32 v25, v29
	s_xor_b32 exec_lo, exec_lo, s16
	s_cbranch_execz .LBB1_153
; %bb.144:                              ;   in Loop: Header=BB1_28 Depth=1
	s_mov_b32 s17, exec_lo
	v_cmpx_eq_u32_e32 22, v10
	s_cbranch_execz .LBB1_152
; %bb.145:                              ;   in Loop: Header=BB1_28 Depth=1
	v_mov_b32_e32 v10, v60
	s_and_saveexec_b32 s8, s13
	s_cbranch_execz .LBB1_151
; %bb.146:                              ;   in Loop: Header=BB1_28 Depth=1
	v_dual_mov_b32 v24, v89 :: v_dual_mov_b32 v10, v92
	s_and_saveexec_b32 s18, s0
	s_cbranch_execz .LBB1_150
; %bb.147:                              ;   in Loop: Header=BB1_28 Depth=1
	v_dual_mov_b32 v24, v89 :: v_dual_mov_b32 v10, v92
	s_mov_b32 s19, 0
.LBB1_148:                              ;   Parent Loop BB1_28 Depth=1
                                        ; =>  This Inner Loop Header: Depth=2
	s_delay_alu instid0(VALU_DEP_1) | instskip(NEXT) | instid1(VALU_DEP_1)
	v_mul_f32_e32 v5, v93, v24
	v_rndne_f32_e32 v5, v5
	s_delay_alu instid0(VALU_DEP_1) | instskip(NEXT) | instid1(VALU_DEP_1)
	v_fma_f32 v5, -v5, v91, v24
	v_add_f32_e32 v6, v91, v5
	v_cmp_gt_f32_e32 vcc_lo, 0, v5
	s_delay_alu instid0(VALU_DEP_2) | instskip(SKIP_2) | instid1(VALU_DEP_3)
	v_cndmask_b32_e32 v5, v5, v6, vcc_lo
	v_cmp_gt_u32_e32 vcc_lo, 25, v10
	v_add_nc_u32_e32 v10, -12, v10
	v_ldexp_f32 v24, v5, 12
	s_or_b32 s19, vcc_lo, s19
	s_delay_alu instid0(SALU_CYCLE_1)
	s_and_not1_b32 exec_lo, exec_lo, s19
	s_cbranch_execnz .LBB1_148
; %bb.149:                              ;   in Loop: Header=BB1_28 Depth=1
	s_or_b32 exec_lo, exec_lo, s19
.LBB1_150:                              ;   in Loop: Header=BB1_28 Depth=1
	s_delay_alu instid0(SALU_CYCLE_1) | instskip(NEXT) | instid1(VALU_DEP_1)
	s_or_b32 exec_lo, exec_lo, s18
	v_add_nc_u32_e32 v5, -11, v10
	s_delay_alu instid0(VALU_DEP_1) | instskip(NEXT) | instid1(VALU_DEP_1)
	v_ldexp_f32 v5, v24, v5
	v_mul_f32_e32 v6, v93, v5
	s_delay_alu instid0(VALU_DEP_1) | instskip(NEXT) | instid1(VALU_DEP_1)
	v_rndne_f32_e32 v6, v6
	v_fma_f32 v5, -v6, v91, v5
	s_delay_alu instid0(VALU_DEP_1) | instskip(SKIP_1) | instid1(VALU_DEP_2)
	v_add_f32_e32 v6, v91, v5
	v_cmp_gt_f32_e32 vcc_lo, 0, v5
	v_cndmask_b32_e32 v5, v5, v6, vcc_lo
	s_delay_alu instid0(VALU_DEP_1) | instskip(NEXT) | instid1(VALU_DEP_1)
	v_ldexp_f32 v5, v5, v90
	v_xor_b32_e32 v10, v94, v5
.LBB1_151:                              ;   in Loop: Header=BB1_28 Depth=1
	s_or_b32 exec_lo, exec_lo, s8
	s_delay_alu instid0(VALU_DEP_1) | instskip(SKIP_1) | instid1(VALU_DEP_2)
	v_cndmask_b32_e64 v5, v10, 0x7fc00000, s1
	v_cndmask_b32_e64 v6, 0, 1, s3
	;; [unrolled: 1-line block ×3, first 2 shown]
	s_delay_alu instid0(VALU_DEP_1) | instskip(SKIP_4) | instid1(VALU_DEP_3)
	v_cmp_gt_f32_e32 vcc_lo, v5, v95
	v_cndmask_b32_e64 v5, 0, 1, s4
	v_dual_cndmask_b32 v7, v109, v113 :: v_dual_cndmask_b32 v8, v108, v112
	v_dual_cndmask_b32 v9, v107, v111 :: v_dual_cndmask_b32 v10, v62, v110
	;; [unrolled: 1-line block ×3, first 2 shown]
	v_cmp_eq_u32_e64 s8, 0, v8
	s_delay_alu instid0(VALU_DEP_2) | instskip(NEXT) | instid1(VALU_DEP_1)
	v_dual_cndmask_b32 v5, v6, v5, vcc_lo :: v_dual_bitop2_b32 v7, v7, v11 bitop3:0x14
	v_dual_cndmask_b32 v6, v9, v10, s8 :: v_dual_bitop2_b32 v5, 1, v5 bitop3:0x40
	s_delay_alu instid0(VALU_DEP_1) | instskip(SKIP_1) | instid1(VALU_DEP_3)
	v_xor3_b32 v6, v7, v14, v6
	v_cndmask_b32_e32 v7, v33, v114, vcc_lo
	v_cmp_eq_u32_e64 s8, 1, v5
	s_delay_alu instid0(VALU_DEP_1) | instskip(SKIP_1) | instid1(VALU_DEP_1)
	v_cndmask_b32_e64 v6, 0x7fc00000, v6, s8
	s_wait_loadcnt 0x0
	v_pk_mul_f32 v[66:67], v[20:21], v[6:7]
.LBB1_152:                              ;   in Loop: Header=BB1_28 Depth=1
	s_or_b32 exec_lo, exec_lo, s17
	s_wait_loadcnt 0x0
	s_delay_alu instid0(VALU_DEP_1)
	v_dual_mov_b32 v24, v67 :: v_dual_mov_b32 v25, v66
.LBB1_153:                              ;   in Loop: Header=BB1_28 Depth=1
	s_or_b32 exec_lo, exec_lo, s16
	s_wait_loadcnt 0x0
	s_delay_alu instid0(VALU_DEP_1)
	v_dual_mov_b32 v67, v24 :: v_dual_mov_b32 v66, v25
.LBB1_154:                              ;   in Loop: Header=BB1_28 Depth=1
	s_or_b32 exec_lo, exec_lo, s9
                                        ; implicit-def: $vgpr10
.LBB1_155:                              ;   in Loop: Header=BB1_28 Depth=1
	s_and_not1_saveexec_b32 s8, s15
	s_cbranch_execz .LBB1_173
; %bb.156:                              ;   in Loop: Header=BB1_28 Depth=1
	s_mov_b32 s9, exec_lo
                                        ; implicit-def: $vgpr67
	v_cmpx_lt_i32_e32 19, v10
	s_xor_b32 s9, exec_lo, s9
	s_cbranch_execz .LBB1_168
; %bb.157:                              ;   in Loop: Header=BB1_28 Depth=1
	s_mov_b32 s15, exec_lo
                                        ; implicit-def: $vgpr67
	v_cmpx_lt_i32_e32 20, v10
	s_xor_b32 s15, exec_lo, s15
	s_cbranch_execz .LBB1_165
; %bb.158:                              ;   in Loop: Header=BB1_28 Depth=1
	v_mov_b32_e32 v10, v99
	s_and_saveexec_b32 s16, s14
	s_cbranch_execz .LBB1_164
; %bb.159:                              ;   in Loop: Header=BB1_28 Depth=1
	v_dual_mov_b32 v24, v100 :: v_dual_mov_b32 v10, v103
	s_and_saveexec_b32 s17, s5
	s_cbranch_execz .LBB1_163
; %bb.160:                              ;   in Loop: Header=BB1_28 Depth=1
	v_dual_mov_b32 v24, v100 :: v_dual_mov_b32 v10, v103
	s_mov_b32 s18, 0
.LBB1_161:                              ;   Parent Loop BB1_28 Depth=1
                                        ; =>  This Inner Loop Header: Depth=2
	s_delay_alu instid0(VALU_DEP_1) | instskip(NEXT) | instid1(VALU_DEP_1)
	v_mul_f32_e32 v5, v104, v24
	v_rndne_f32_e32 v5, v5
	s_delay_alu instid0(VALU_DEP_1) | instskip(NEXT) | instid1(VALU_DEP_1)
	v_fma_f32 v5, -v5, v102, v24
	v_add_f32_e32 v6, v102, v5
	v_cmp_gt_f32_e32 vcc_lo, 0, v5
	s_delay_alu instid0(VALU_DEP_2) | instskip(SKIP_2) | instid1(VALU_DEP_3)
	v_cndmask_b32_e32 v5, v5, v6, vcc_lo
	v_cmp_gt_u32_e32 vcc_lo, 25, v10
	v_add_nc_u32_e32 v10, -12, v10
	v_ldexp_f32 v24, v5, 12
	s_or_b32 s18, vcc_lo, s18
	s_delay_alu instid0(SALU_CYCLE_1)
	s_and_not1_b32 exec_lo, exec_lo, s18
	s_cbranch_execnz .LBB1_161
; %bb.162:                              ;   in Loop: Header=BB1_28 Depth=1
	s_or_b32 exec_lo, exec_lo, s18
.LBB1_163:                              ;   in Loop: Header=BB1_28 Depth=1
	s_delay_alu instid0(SALU_CYCLE_1) | instskip(NEXT) | instid1(VALU_DEP_1)
	s_or_b32 exec_lo, exec_lo, s17
	v_add_nc_u32_e32 v5, -11, v10
	s_delay_alu instid0(VALU_DEP_1) | instskip(NEXT) | instid1(VALU_DEP_1)
	v_ldexp_f32 v5, v24, v5
	v_mul_f32_e32 v6, v104, v5
	s_delay_alu instid0(VALU_DEP_1) | instskip(NEXT) | instid1(VALU_DEP_1)
	v_rndne_f32_e32 v6, v6
	v_fma_f32 v5, -v6, v102, v5
	s_delay_alu instid0(VALU_DEP_1) | instskip(SKIP_1) | instid1(VALU_DEP_2)
	v_add_f32_e32 v6, v102, v5
	v_cmp_gt_f32_e32 vcc_lo, 0, v5
	v_cndmask_b32_e32 v5, v5, v6, vcc_lo
	s_delay_alu instid0(VALU_DEP_1) | instskip(NEXT) | instid1(VALU_DEP_1)
	v_ldexp_f32 v5, v5, v101
	v_xor_b32_e32 v10, v105, v5
.LBB1_164:                              ;   in Loop: Header=BB1_28 Depth=1
	s_or_b32 exec_lo, exec_lo, s16
	s_delay_alu instid0(VALU_DEP_1) | instskip(NEXT) | instid1(VALU_DEP_1)
	v_cndmask_b32_e64 v5, v10, 0x7fc00000, s6
	v_cndmask_b32_e64 v5, 0x7fc00000, v5, s7
	s_delay_alu instid0(VALU_DEP_1) | instskip(NEXT) | instid1(VALU_DEP_1)
	v_sub_f32_e32 v5, v5, v63
	v_add_f32_e32 v6, v106, v5
	s_wait_loadcnt 0x0
	s_delay_alu instid0(VALU_DEP_1)
	v_pk_mul_f32 v[66:67], v[64:65], v[6:7] op_sel_hi:[1,0]
.LBB1_165:                              ;   in Loop: Header=BB1_28 Depth=1
	s_and_not1_saveexec_b32 s15, s15
	s_cbranch_execz .LBB1_167
; %bb.166:                              ;   in Loop: Header=BB1_28 Depth=1
	s_wait_loadcnt 0x0
	v_dual_mov_b32 v67, v39 :: v_dual_mov_b32 v66, v38
.LBB1_167:                              ;   in Loop: Header=BB1_28 Depth=1
	s_or_b32 exec_lo, exec_lo, s15
                                        ; implicit-def: $vgpr10
.LBB1_168:                              ;   in Loop: Header=BB1_28 Depth=1
	s_and_not1_saveexec_b32 s9, s9
	s_cbranch_execz .LBB1_172
; %bb.169:                              ;   in Loop: Header=BB1_28 Depth=1
	s_mov_b32 s15, exec_lo
	v_cmpx_lt_i32_e32 18, v10
	s_xor_b32 s15, exec_lo, s15
	s_delay_alu instid0(SALU_CYCLE_1)
	s_or_saveexec_b32 s15, s15
	s_wait_loadcnt 0x0
	v_dual_mov_b32 v67, v41 :: v_dual_mov_b32 v66, v40
	s_xor_b32 exec_lo, exec_lo, s15
; %bb.170:                              ;   in Loop: Header=BB1_28 Depth=1
	v_dual_mov_b32 v67, v43 :: v_dual_mov_b32 v66, v42
; %bb.171:                              ;   in Loop: Header=BB1_28 Depth=1
	s_or_b32 exec_lo, exec_lo, s15
.LBB1_172:                              ;   in Loop: Header=BB1_28 Depth=1
	s_delay_alu instid0(SALU_CYCLE_1)
	s_or_b32 exec_lo, exec_lo, s9
.LBB1_173:                              ;   in Loop: Header=BB1_28 Depth=1
	s_delay_alu instid0(SALU_CYCLE_1)
	s_or_b32 exec_lo, exec_lo, s8
.LBB1_174:                              ;   in Loop: Header=BB1_28 Depth=1
	s_delay_alu instid0(SALU_CYCLE_1)
	s_or_b32 exec_lo, exec_lo, s12
                                        ; implicit-def: $vgpr10
.LBB1_175:                              ;   in Loop: Header=BB1_28 Depth=1
	s_and_not1_saveexec_b32 s11, s11
	s_cbranch_execz .LBB1_26
; %bb.176:                              ;   in Loop: Header=BB1_28 Depth=1
                                        ; implicit-def: $vgpr24
                                        ; implicit-def: $vgpr25
	s_mov_b32 s8, exec_lo
	v_cmpx_lt_i32_e32 8, v10
	s_xor_b32 s12, exec_lo, s8
	s_cbranch_execz .LBB1_220
; %bb.177:                              ;   in Loop: Header=BB1_28 Depth=1
                                        ; implicit-def: $vgpr24
                                        ; implicit-def: $vgpr25
	s_mov_b32 s8, exec_lo
	v_cmpx_lt_i32_e32 12, v10
	s_xor_b32 s15, exec_lo, s8
	s_cbranch_execz .LBB1_209
; %bb.178:                              ;   in Loop: Header=BB1_28 Depth=1
	s_mov_b32 s8, exec_lo
                                        ; implicit-def: $vgpr24
                                        ; implicit-def: $vgpr25
	v_cmpx_lt_i32_e32 14, v10
	s_xor_b32 s8, exec_lo, s8
	s_cbranch_execz .LBB1_186
; %bb.179:                              ;   in Loop: Header=BB1_28 Depth=1
	s_mov_b32 s9, exec_lo
                                        ; implicit-def: $vgpr24
                                        ; implicit-def: $vgpr25
	v_cmpx_lt_i32_e32 15, v10
	s_xor_b32 s9, exec_lo, s9
	s_cbranch_execz .LBB1_183
; %bb.180:                              ;   in Loop: Header=BB1_28 Depth=1
	s_mov_b32 s16, exec_lo
	v_cmpx_lt_i32_e32 16, v10
	s_xor_b32 s16, exec_lo, s16
	s_delay_alu instid0(SALU_CYCLE_1)
	s_or_saveexec_b32 s16, s16
	v_dual_mov_b32 v24, v3 :: v_dual_mov_b32 v25, v2
	s_xor_b32 exec_lo, exec_lo, s16
; %bb.181:                              ;   in Loop: Header=BB1_28 Depth=1
	v_dual_mov_b32 v24, v29 :: v_dual_mov_b32 v25, v28
; %bb.182:                              ;   in Loop: Header=BB1_28 Depth=1
	s_or_b32 exec_lo, exec_lo, s16
.LBB1_183:                              ;   in Loop: Header=BB1_28 Depth=1
	s_and_not1_saveexec_b32 s9, s9
; %bb.184:                              ;   in Loop: Header=BB1_28 Depth=1
	v_dual_mov_b32 v24, v45 :: v_dual_mov_b32 v25, v44
; %bb.185:                              ;   in Loop: Header=BB1_28 Depth=1
	s_or_b32 exec_lo, exec_lo, s9
                                        ; implicit-def: $vgpr10
.LBB1_186:                              ;   in Loop: Header=BB1_28 Depth=1
	s_and_not1_saveexec_b32 s16, s8
	s_cbranch_execz .LBB1_208
; %bb.187:                              ;   in Loop: Header=BB1_28 Depth=1
	s_mov_b32 s8, exec_lo
                                        ; implicit-def: $vgpr24
                                        ; implicit-def: $vgpr25
	v_cmpx_lt_i32_e32 13, v10
	s_xor_b32 s8, exec_lo, s8
	s_cbranch_execz .LBB1_197
; %bb.188:                              ;   in Loop: Header=BB1_28 Depth=1
	s_mov_b32 s9, exec_lo
                                        ; implicit-def: $vgpr25
	v_cmpx_lt_i32_e32 1, v82
	s_xor_b32 s9, exec_lo, s9
	s_cbranch_execz .LBB1_192
; %bb.189:                              ;   in Loop: Header=BB1_28 Depth=1
	v_mov_b32_e32 v25, v18
	s_mov_b32 s17, exec_lo
	v_cmpx_gt_i32_e32 3, v82
	s_cbranch_execz .LBB1_191
; %bb.190:                              ;   in Loop: Header=BB1_28 Depth=1
	scratch_load_b64 v[6:7], off, off offset:44 ; 8-byte Folded Reload
	s_wait_loadcnt 0x0
	v_mov_b32_e32 v25, v6
.LBB1_191:                              ;   in Loop: Header=BB1_28 Depth=1
	s_wait_xcnt 0x0
	s_or_b32 exec_lo, exec_lo, s17
.LBB1_192:                              ;   in Loop: Header=BB1_28 Depth=1
	s_or_saveexec_b32 s9, s9
	v_mov_b32_e32 v24, v19
	s_xor_b32 exec_lo, exec_lo, s9
	s_cbranch_execz .LBB1_196
; %bb.193:                              ;   in Loop: Header=BB1_28 Depth=1
	s_mov_b32 s17, exec_lo
	v_cmpx_ne_u32_e32 1, v82
	s_xor_b32 s17, exec_lo, s17
	s_delay_alu instid0(SALU_CYCLE_1)
	s_or_saveexec_b32 s17, s17
	scratch_load_b64 v[6:7], off, off offset:44 ; 8-byte Folded Reload
	s_wait_loadcnt 0x0
	v_dual_mov_b32 v24, v7 :: v_dual_mov_b32 v25, v6
	s_wait_xcnt 0x0
	s_xor_b32 exec_lo, exec_lo, s17
; %bb.194:                              ;   in Loop: Header=BB1_28 Depth=1
	v_dual_mov_b32 v24, v32 :: v_dual_mov_b32 v25, v18
; %bb.195:                              ;   in Loop: Header=BB1_28 Depth=1
	s_or_b32 exec_lo, exec_lo, s17
.LBB1_196:                              ;   in Loop: Header=BB1_28 Depth=1
	s_delay_alu instid0(SALU_CYCLE_1)
	s_or_b32 exec_lo, exec_lo, s9
.LBB1_197:                              ;   in Loop: Header=BB1_28 Depth=1
	s_and_not1_saveexec_b32 s17, s8
	s_cbranch_execz .LBB1_207
; %bb.198:                              ;   in Loop: Header=BB1_28 Depth=1
	global_load_b32 v5, v[118:119], off
	scratch_load_b32 v6, off, off offset:40 ; 4-byte Folded Reload
                                        ; implicit-def: $vgpr67
                                        ; implicit-def: $vgpr25
	s_wait_loadcnt 0x1
	v_cmp_lt_f32_e32 vcc_lo, 0.5, v5
	v_cndmask_b32_e64 v5, 0x40490fdb, 0, vcc_lo
	s_wait_loadcnt 0x0
	s_delay_alu instid0(VALU_DEP_1) | instskip(NEXT) | instid1(VALU_DEP_1)
	v_add_f32_e32 v66, v6, v5
	v_and_b32_e32 v24, 0x7fffffff, v66
	s_delay_alu instid0(VALU_DEP_1) | instskip(SKIP_2) | instid1(VALU_DEP_3)
	v_lshrrev_b32_e32 v5, 23, v24
	v_cmp_ngt_f32_e64 s18, 0x48000000, |v66|
	v_and_or_b32 v14, v24, s31, 0x800000
	v_add_nc_u32_e32 v68, 0xffffff88, v5
	s_wait_xcnt 0x0
	s_and_saveexec_b32 s8, s18
	s_delay_alu instid0(SALU_CYCLE_1)
	s_xor_b32 s19, exec_lo, s8
	s_cbranch_execz .LBB1_200
; %bb.199:                              ;   in Loop: Header=BB1_28 Depth=1
	v_mul_u64_e32 v[6:7], s[28:29], v[14:15]
	v_mov_b32_e32 v9, v15
	v_cmp_lt_u32_e32 vcc_lo, 63, v68
	v_mov_b32_e32 v77, v15
	v_cndmask_b32_e64 v5, 0, 0xffffffc0, vcc_lo
	s_delay_alu instid0(VALU_DEP_1) | instskip(NEXT) | instid1(VALU_DEP_1)
	v_add_nc_u32_e32 v5, v5, v68
	v_cmp_lt_u32_e64 s8, 31, v5
	v_mov_b32_e32 v8, v7
	s_delay_alu instid0(VALU_DEP_2) | instskip(NEXT) | instid1(VALU_DEP_2)
	v_cndmask_b32_e64 v7, 0, 0xffffffe0, s8
	v_mad_nc_u64_u32 v[8:9], 0x3c439041, v14, v[8:9]
	s_delay_alu instid0(VALU_DEP_1) | instskip(NEXT) | instid1(VALU_DEP_1)
	v_dual_mov_b32 v11, v15 :: v_dual_mov_b32 v10, v9
	v_mad_nc_u64_u32 v[10:11], 0xdb629599, v14, v[10:11]
	s_delay_alu instid0(VALU_DEP_1) | instskip(NEXT) | instid1(VALU_DEP_1)
	v_dual_mov_b32 v71, v15 :: v_dual_mov_b32 v70, v11
	;; [unrolled: 3-line block ×3, first 2 shown]
	v_mad_nc_u64_u32 v[72:73], 0xfc2757d1, v14, v[72:73]
	s_delay_alu instid0(VALU_DEP_1) | instskip(NEXT) | instid1(VALU_DEP_2)
	v_dual_mov_b32 v75, v15 :: v_dual_mov_b32 v74, v73
	v_cndmask_b32_e32 v31, v72, v10, vcc_lo
	s_delay_alu instid0(VALU_DEP_2) | instskip(NEXT) | instid1(VALU_DEP_1)
	v_mad_nc_u64_u32 v[74:75], 0x4e441529, v14, v[74:75]
	v_dual_mov_b32 v76, v75 :: v_dual_cndmask_b32 v9, v74, v70
	s_delay_alu instid0(VALU_DEP_1) | instskip(NEXT) | instid1(VALU_DEP_1)
	v_mad_nc_u64_u32 v[76:77], 0xa2f9836e, v14, v[76:77]
	v_dual_add_nc_u32 v5, v7, v5 :: v_dual_cndmask_b32 v11, v76, v72, vcc_lo
	s_delay_alu instid0(VALU_DEP_1) | instskip(NEXT) | instid1(VALU_DEP_1)
	v_cmp_lt_u32_e64 s9, 31, v5
	v_cndmask_b32_e64 v7, 0, 0xffffffe0, s9
	s_delay_alu instid0(VALU_DEP_1) | instskip(NEXT) | instid1(VALU_DEP_4)
	v_dual_cndmask_b32 v25, v77, v74, vcc_lo :: v_dual_add_nc_u32 v5, v7, v5
	v_dual_cndmask_b32 v7, v70, v8, vcc_lo :: v_dual_cndmask_b32 v8, v11, v9, s8
	s_delay_alu instid0(VALU_DEP_2) | instskip(NEXT) | instid1(VALU_DEP_3)
	v_cndmask_b32_e64 v11, v25, v11, s8
	v_dual_cndmask_b32 v9, v9, v31, s8 :: v_dual_sub_nc_u32 v25, 32, v5
	s_delay_alu instid0(VALU_DEP_3) | instskip(NEXT) | instid1(VALU_DEP_2)
	v_cndmask_b32_e64 v31, v31, v7, s8
	v_dual_cndmask_b32 v11, v11, v8, s9 :: v_dual_cndmask_b32 v8, v8, v9, s9
	s_delay_alu instid0(VALU_DEP_2) | instskip(NEXT) | instid1(VALU_DEP_2)
	v_cndmask_b32_e64 v9, v9, v31, s9
	v_alignbit_b32 v67, v11, v8, v25
	v_cndmask_b32_e32 v6, v10, v6, vcc_lo
	v_cmp_eq_u32_e32 vcc_lo, 0, v5
	s_delay_alu instid0(VALU_DEP_4) | instskip(NEXT) | instid1(VALU_DEP_4)
	v_alignbit_b32 v10, v8, v9, v25
	v_cndmask_b32_e32 v5, v67, v11, vcc_lo
	s_delay_alu instid0(VALU_DEP_2) | instskip(NEXT) | instid1(VALU_DEP_2)
	v_dual_cndmask_b32 v6, v7, v6, s8 :: v_dual_cndmask_b32 v7, v10, v8, vcc_lo
	v_bfe_u32 v8, v5, 29, 1
	s_delay_alu instid0(VALU_DEP_2) | instskip(NEXT) | instid1(VALU_DEP_3)
	v_cndmask_b32_e64 v6, v31, v6, s9
	v_alignbit_b32 v10, v5, v7, 30
	s_delay_alu instid0(VALU_DEP_3) | instskip(NEXT) | instid1(VALU_DEP_3)
	v_sub_nc_u32_e32 v11, 0, v8
	v_alignbit_b32 v25, v9, v6, v25
	s_delay_alu instid0(VALU_DEP_1) | instskip(NEXT) | instid1(VALU_DEP_1)
	v_dual_cndmask_b32 v9, v25, v9, vcc_lo :: v_dual_bitop2_b32 v10, v10, v11 bitop3:0x14
	v_clz_i32_u32_e32 v25, v10
	s_delay_alu instid0(VALU_DEP_2) | instskip(SKIP_1) | instid1(VALU_DEP_3)
	v_alignbit_b32 v7, v7, v9, 30
	v_alignbit_b32 v6, v9, v6, 30
	v_min_u32_e32 v25, 32, v25
	s_delay_alu instid0(VALU_DEP_3) | instskip(NEXT) | instid1(VALU_DEP_3)
	v_xor_b32_e32 v7, v7, v11
	v_dual_lshrrev_b32 v11, 29, v5 :: v_dual_bitop2_b32 v6, v6, v11 bitop3:0x14
	v_lshrrev_b32_e32 v5, 30, v5
	s_delay_alu instid0(VALU_DEP_4) | instskip(NEXT) | instid1(VALU_DEP_1)
	v_dual_sub_nc_u32 v9, 31, v25 :: v_dual_lshlrev_b32 v31, 23, v25
	v_alignbit_b32 v10, v10, v7, v9
	s_delay_alu instid0(VALU_DEP_4) | instskip(SKIP_1) | instid1(VALU_DEP_2)
	v_alignbit_b32 v6, v7, v6, v9
	v_lshlrev_b32_e32 v7, 31, v11
	v_alignbit_b32 v9, v10, v6, 9
	s_delay_alu instid0(VALU_DEP_2) | instskip(SKIP_1) | instid1(VALU_DEP_3)
	v_dual_lshrrev_b32 v10, 9, v10 :: v_dual_bitop2_b32 v11, 0.5, v7 bitop3:0x54
	v_or_b32_e32 v7, 0x33000000, v7
	v_clz_i32_u32_e32 v67, v9
	s_delay_alu instid0(VALU_DEP_3) | instskip(NEXT) | instid1(VALU_DEP_2)
	v_sub_nc_u32_e32 v11, v11, v31
	v_min_u32_e32 v31, 32, v67
	s_delay_alu instid0(VALU_DEP_1) | instskip(NEXT) | instid1(VALU_DEP_3)
	v_add_lshl_u32 v25, v31, v25, 23
	v_or_b32_e32 v10, v10, v11
	v_not_b32_e32 v11, v31
	s_delay_alu instid0(VALU_DEP_3) | instskip(NEXT) | instid1(VALU_DEP_3)
	v_sub_nc_u32_e32 v7, v7, v25
	v_mul_f32_e32 v67, 0x3fc90fda, v10
	s_delay_alu instid0(VALU_DEP_3) | instskip(NEXT) | instid1(VALU_DEP_2)
	v_alignbit_b32 v6, v9, v6, v11
	v_fma_f32 v9, 0x3fc90fda, v10, -v67
	s_delay_alu instid0(VALU_DEP_2) | instskip(NEXT) | instid1(VALU_DEP_2)
	v_lshrrev_b32_e32 v6, 9, v6
	v_fmac_f32_e32 v9, 0x33a22168, v10
	s_delay_alu instid0(VALU_DEP_2) | instskip(NEXT) | instid1(VALU_DEP_1)
	v_or_b32_e32 v6, v7, v6
	v_fmac_f32_e32 v9, 0x3fc90fda, v6
	s_delay_alu instid0(VALU_DEP_1)
	v_add_f32_e32 v25, v67, v9
	v_add_nc_u32_e32 v67, v8, v5
.LBB1_200:                              ;   in Loop: Header=BB1_28 Depth=1
	s_or_saveexec_b32 s8, s19
	v_mul_f32_e64 v5, 0x3f22f983, |v66|
	s_delay_alu instid0(VALU_DEP_1)
	v_rndne_f32_e32 v71, v5
	s_xor_b32 exec_lo, exec_lo, s8
; %bb.201:                              ;   in Loop: Header=BB1_28 Depth=1
	s_delay_alu instid0(VALU_DEP_1) | instskip(SKIP_1) | instid1(VALU_DEP_2)
	v_fma_f32 v25, 0xbfc90fda, v71, |v66|
	v_cvt_i32_f32_e32 v67, v71
	v_fmac_f32_e32 v25, 0xb3a22168, v71
	s_delay_alu instid0(VALU_DEP_1)
	v_fmac_f32_e32 v25, 0xa7c234c4, v71
; %bb.202:                              ;   in Loop: Header=BB1_28 Depth=1
	s_or_b32 exec_lo, exec_lo, s8
                                        ; implicit-def: $vgpr70
                                        ; implicit-def: $vgpr69
	s_and_saveexec_b32 s8, s18
	s_delay_alu instid0(SALU_CYCLE_1)
	s_xor_b32 s18, exec_lo, s8
	s_cbranch_execz .LBB1_204
; %bb.203:                              ;   in Loop: Header=BB1_28 Depth=1
	v_mul_u64_e32 v[6:7], s[28:29], v[14:15]
	v_mov_b32_e32 v9, v15
	v_cmp_lt_u32_e32 vcc_lo, 63, v68
	v_mov_b32_e32 v69, v15
	v_cndmask_b32_e64 v5, 0, 0xffffffc0, vcc_lo
	s_delay_alu instid0(VALU_DEP_1) | instskip(NEXT) | instid1(VALU_DEP_1)
	v_add_nc_u32_e32 v5, v5, v68
	v_cmp_lt_u32_e64 s8, 31, v5
	v_mov_b32_e32 v8, v7
	s_delay_alu instid0(VALU_DEP_2) | instskip(NEXT) | instid1(VALU_DEP_2)
	v_cndmask_b32_e64 v7, 0, 0xffffffe0, s8
	v_mad_nc_u64_u32 v[8:9], 0x3c439041, v14, v[8:9]
	s_delay_alu instid0(VALU_DEP_1) | instskip(NEXT) | instid1(VALU_DEP_1)
	v_dual_mov_b32 v11, v15 :: v_dual_mov_b32 v10, v9
	v_mad_nc_u64_u32 v[10:11], 0xdb629599, v14, v[10:11]
	s_delay_alu instid0(VALU_DEP_1) | instskip(NEXT) | instid1(VALU_DEP_1)
	v_dual_mov_b32 v71, v15 :: v_dual_mov_b32 v70, v11
	;; [unrolled: 3-line block ×3, first 2 shown]
                                        ; implicit-def: $vgpr71
	v_mad_nc_u64_u32 v[72:73], 0xfc2757d1, v14, v[72:73]
	s_delay_alu instid0(VALU_DEP_1) | instskip(NEXT) | instid1(VALU_DEP_2)
	v_dual_mov_b32 v75, v15 :: v_dual_mov_b32 v74, v73
	v_cndmask_b32_e32 v31, v72, v10, vcc_lo
	s_delay_alu instid0(VALU_DEP_2) | instskip(NEXT) | instid1(VALU_DEP_1)
	v_mad_nc_u64_u32 v[74:75], 0x4e441529, v14, v[74:75]
	v_dual_mov_b32 v68, v75 :: v_dual_cndmask_b32 v9, v74, v70
	s_delay_alu instid0(VALU_DEP_1) | instskip(NEXT) | instid1(VALU_DEP_1)
	v_mad_nc_u64_u32 v[68:69], 0xa2f9836e, v14, v[68:69]
	v_dual_add_nc_u32 v5, v7, v5 :: v_dual_cndmask_b32 v11, v68, v72, vcc_lo
	s_delay_alu instid0(VALU_DEP_1) | instskip(NEXT) | instid1(VALU_DEP_1)
	v_cmp_lt_u32_e64 s9, 31, v5
	v_cndmask_b32_e64 v7, 0, 0xffffffe0, s9
	s_delay_alu instid0(VALU_DEP_1) | instskip(NEXT) | instid1(VALU_DEP_4)
	v_dual_cndmask_b32 v14, v69, v74 :: v_dual_add_nc_u32 v5, v7, v5
	v_dual_cndmask_b32 v7, v70, v8, vcc_lo :: v_dual_cndmask_b32 v8, v11, v9, s8
	s_delay_alu instid0(VALU_DEP_2) | instskip(NEXT) | instid1(VALU_DEP_3)
	v_cndmask_b32_e64 v11, v14, v11, s8
	v_dual_cndmask_b32 v9, v9, v31, s8 :: v_dual_sub_nc_u32 v14, 32, v5
	s_delay_alu instid0(VALU_DEP_3) | instskip(NEXT) | instid1(VALU_DEP_2)
	v_cndmask_b32_e64 v31, v31, v7, s8
	v_dual_cndmask_b32 v11, v11, v8, s9 :: v_dual_cndmask_b32 v8, v8, v9, s9
	s_delay_alu instid0(VALU_DEP_2) | instskip(NEXT) | instid1(VALU_DEP_2)
	v_cndmask_b32_e64 v9, v9, v31, s9
	v_alignbit_b32 v68, v11, v8, v14
	v_cndmask_b32_e32 v6, v10, v6, vcc_lo
	v_cmp_eq_u32_e32 vcc_lo, 0, v5
	s_delay_alu instid0(VALU_DEP_4) | instskip(NEXT) | instid1(VALU_DEP_3)
	v_alignbit_b32 v10, v8, v9, v14
	v_dual_cndmask_b32 v5, v68, v11, vcc_lo :: v_dual_cndmask_b32 v6, v7, v6, s8
	s_delay_alu instid0(VALU_DEP_2) | instskip(NEXT) | instid1(VALU_DEP_2)
	v_cndmask_b32_e32 v7, v10, v8, vcc_lo
	v_bfe_u32 v8, v5, 29, 1
	s_delay_alu instid0(VALU_DEP_3) | instskip(NEXT) | instid1(VALU_DEP_3)
	v_cndmask_b32_e64 v6, v31, v6, s9
	v_alignbit_b32 v10, v5, v7, 30
	s_delay_alu instid0(VALU_DEP_3) | instskip(NEXT) | instid1(VALU_DEP_3)
	v_sub_nc_u32_e32 v11, 0, v8
	v_alignbit_b32 v14, v9, v6, v14
	s_delay_alu instid0(VALU_DEP_2) | instskip(NEXT) | instid1(VALU_DEP_2)
	v_xor_b32_e32 v10, v10, v11
	v_cndmask_b32_e32 v9, v14, v9, vcc_lo
	s_delay_alu instid0(VALU_DEP_2) | instskip(NEXT) | instid1(VALU_DEP_2)
	v_clz_i32_u32_e32 v14, v10
	v_alignbit_b32 v7, v7, v9, 30
	s_delay_alu instid0(VALU_DEP_2) | instskip(NEXT) | instid1(VALU_DEP_2)
	v_min_u32_e32 v14, 32, v14
	v_xor_b32_e32 v7, v7, v11
	v_alignbit_b32 v6, v9, v6, 30
	s_delay_alu instid0(VALU_DEP_3) | instskip(NEXT) | instid1(VALU_DEP_2)
	v_dual_sub_nc_u32 v9, 31, v14 :: v_dual_lshlrev_b32 v31, 23, v14
	v_dual_lshrrev_b32 v11, 29, v5 :: v_dual_bitop2_b32 v6, v6, v11 bitop3:0x14
	v_lshrrev_b32_e32 v5, 30, v5
	s_delay_alu instid0(VALU_DEP_3) | instskip(NEXT) | instid1(VALU_DEP_3)
	v_alignbit_b32 v10, v10, v7, v9
	v_alignbit_b32 v6, v7, v6, v9
	s_delay_alu instid0(VALU_DEP_3) | instskip(NEXT) | instid1(VALU_DEP_2)
	v_dual_lshlrev_b32 v7, 31, v11 :: v_dual_add_nc_u32 v70, v8, v5
	v_alignbit_b32 v9, v10, v6, 9
	s_delay_alu instid0(VALU_DEP_2) | instskip(SKIP_1) | instid1(VALU_DEP_3)
	v_dual_lshrrev_b32 v10, 9, v10 :: v_dual_bitop2_b32 v11, 0.5, v7 bitop3:0x54
	v_or_b32_e32 v7, 0x33000000, v7
	v_clz_i32_u32_e32 v68, v9
	s_delay_alu instid0(VALU_DEP_3) | instskip(NEXT) | instid1(VALU_DEP_2)
	v_sub_nc_u32_e32 v11, v11, v31
	v_min_u32_e32 v31, 32, v68
	s_delay_alu instid0(VALU_DEP_1) | instskip(NEXT) | instid1(VALU_DEP_3)
	v_add_lshl_u32 v14, v31, v14, 23
	v_or_b32_e32 v10, v10, v11
	v_not_b32_e32 v11, v31
	s_delay_alu instid0(VALU_DEP_3) | instskip(NEXT) | instid1(VALU_DEP_3)
	v_sub_nc_u32_e32 v7, v7, v14
	v_mul_f32_e32 v68, 0x3fc90fda, v10
	s_delay_alu instid0(VALU_DEP_3) | instskip(NEXT) | instid1(VALU_DEP_2)
	v_alignbit_b32 v6, v9, v6, v11
	v_fma_f32 v9, 0x3fc90fda, v10, -v68
	s_delay_alu instid0(VALU_DEP_2) | instskip(NEXT) | instid1(VALU_DEP_2)
	v_lshrrev_b32_e32 v6, 9, v6
	v_fmac_f32_e32 v9, 0x33a22168, v10
	s_delay_alu instid0(VALU_DEP_2) | instskip(NEXT) | instid1(VALU_DEP_1)
	v_or_b32_e32 v6, v7, v6
	v_fmac_f32_e32 v9, 0x3fc90fda, v6
	s_delay_alu instid0(VALU_DEP_1)
	v_add_f32_e32 v69, v68, v9
	s_and_not1_saveexec_b32 s8, s18
	s_cbranch_execnz .LBB1_205
	s_branch .LBB1_206
.LBB1_204:                              ;   in Loop: Header=BB1_28 Depth=1
	s_and_not1_saveexec_b32 s8, s18
.LBB1_205:                              ;   in Loop: Header=BB1_28 Depth=1
	v_fma_f32 v69, 0xbfc90fda, v71, |v66|
	v_cvt_i32_f32_e32 v70, v71
	s_delay_alu instid0(VALU_DEP_2) | instskip(NEXT) | instid1(VALU_DEP_1)
	v_fmac_f32_e32 v69, 0xb3a22168, v71
	v_fmac_f32_e32 v69, 0xa7c234c4, v71
.LBB1_206:                              ;   in Loop: Header=BB1_28 Depth=1
	s_or_b32 exec_lo, exec_lo, s8
	v_dual_mul_f32 v5, v25, v25 :: v_dual_bitop2_b32 v7, 1, v67 bitop3:0x40
	s_delay_alu instid0(VALU_DEP_2) | instskip(NEXT) | instid1(VALU_DEP_2)
	v_dual_mul_f32 v6, v69, v69 :: v_dual_lshlrev_b32 v8, 30, v67
	v_dual_fmaak_f32 v10, s34, v5, 0xbab64f3b :: v_dual_lshlrev_b32 v67, 30, v70
	v_fmaak_f32 v9, s30, v5, 0x3c0881c4
	s_delay_alu instid0(VALU_DEP_3) | instskip(SKIP_1) | instid1(VALU_DEP_4)
	v_fmaak_f32 v11, s30, v6, 0x3c0881c4
	v_cmp_eq_u32_e32 vcc_lo, 0, v7
	v_fmaak_f32 v10, v5, v10, 0x3d2aabf7
	s_delay_alu instid0(VALU_DEP_4) | instskip(SKIP_3) | instid1(VALU_DEP_4)
	v_fmaak_f32 v9, v5, v9, 0xbe2aaa9d
	v_fmaak_f32 v14, s34, v6, 0xbab64f3b
	;; [unrolled: 1-line block ×3, first 2 shown]
	v_and_b32_e32 v31, 1, v70
	v_dual_fmaak_f32 v10, v5, v10, 0xbf000004 :: v_dual_mul_f32 v9, v5, v9
	s_delay_alu instid0(VALU_DEP_3) | instskip(NEXT) | instid1(VALU_DEP_2)
	v_dual_fmaak_f32 v14, v6, v14, 0x3d2aabf7 :: v_dual_mul_f32 v11, v6, v11
	v_fma_f32 v5, v5, v10, 1.0
	s_delay_alu instid0(VALU_DEP_2) | instskip(NEXT) | instid1(VALU_DEP_3)
	v_dual_fmac_f32 v25, v25, v9 :: v_dual_fmaak_f32 v14, v6, v14, 0xbf000004
	v_dual_fmac_f32 v69, v69, v11 :: v_dual_bitop2_b32 v24, v24, v66 bitop3:0x14
	v_and_b32_e32 v9, 0x80000000, v67
	s_delay_alu instid0(VALU_DEP_3) | instskip(NEXT) | instid1(VALU_DEP_4)
	v_cndmask_b32_e64 v5, -v25, v5, vcc_lo
	v_fma_f32 v6, v6, v14, 1.0
	v_cmp_eq_u32_e32 vcc_lo, 0, v31
	s_delay_alu instid0(VALU_DEP_3) | instskip(NEXT) | instid1(VALU_DEP_3)
	v_bitop3_b32 v5, v8, v5, 0x80000000 bitop3:0x6c
	v_cndmask_b32_e32 v6, v6, v69, vcc_lo
	v_cmp_class_f32_e64 vcc_lo, v66, 0x1f8
	s_delay_alu instid0(VALU_DEP_2) | instskip(NEXT) | instid1(VALU_DEP_4)
	v_xor3_b32 v6, v24, v9, v6
	v_cndmask_b32_e32 v5, 0x7fc00000, v5, vcc_lo
	s_delay_alu instid0(VALU_DEP_2) | instskip(NEXT) | instid1(VALU_DEP_1)
	v_cndmask_b32_e32 v6, 0x7fc00000, v6, vcc_lo
	v_dual_mul_f32 v24, v30, v5 :: v_dual_mul_f32 v25, v30, v6
.LBB1_207:                              ;   in Loop: Header=BB1_28 Depth=1
	s_or_b32 exec_lo, exec_lo, s17
.LBB1_208:                              ;   in Loop: Header=BB1_28 Depth=1
	s_delay_alu instid0(SALU_CYCLE_1)
	s_or_b32 exec_lo, exec_lo, s16
                                        ; implicit-def: $vgpr10
.LBB1_209:                              ;   in Loop: Header=BB1_28 Depth=1
	s_and_not1_saveexec_b32 s8, s15
	s_cbranch_execz .LBB1_219
; %bb.210:                              ;   in Loop: Header=BB1_28 Depth=1
	s_mov_b32 s9, exec_lo
                                        ; implicit-def: $vgpr24
                                        ; implicit-def: $vgpr25
	v_cmpx_lt_i32_e32 10, v10
	s_xor_b32 s9, exec_lo, s9
	s_cbranch_execz .LBB1_214
; %bb.211:                              ;   in Loop: Header=BB1_28 Depth=1
	s_mov_b32 s15, exec_lo
	v_cmpx_lt_i32_e32 11, v10
	s_xor_b32 s15, exec_lo, s15
	s_delay_alu instid0(SALU_CYCLE_1)
	s_or_saveexec_b32 s15, s15
	v_dual_mov_b32 v24, v47 :: v_dual_mov_b32 v25, v46
	s_xor_b32 exec_lo, exec_lo, s15
; %bb.212:                              ;   in Loop: Header=BB1_28 Depth=1
	v_dual_mov_b32 v24, v49 :: v_dual_mov_b32 v25, v48
; %bb.213:                              ;   in Loop: Header=BB1_28 Depth=1
	s_or_b32 exec_lo, exec_lo, s15
                                        ; implicit-def: $vgpr10
.LBB1_214:                              ;   in Loop: Header=BB1_28 Depth=1
	s_and_not1_saveexec_b32 s9, s9
	s_cbranch_execz .LBB1_218
; %bb.215:                              ;   in Loop: Header=BB1_28 Depth=1
	s_mov_b32 s15, exec_lo
	v_cmpx_lt_i32_e32 9, v10
	s_xor_b32 s15, exec_lo, s15
	s_delay_alu instid0(SALU_CYCLE_1)
	s_or_saveexec_b32 s15, s15
	v_dual_mov_b32 v24, v87 :: v_dual_mov_b32 v25, v88
	s_xor_b32 exec_lo, exec_lo, s15
; %bb.216:                              ;   in Loop: Header=BB1_28 Depth=1
	v_dual_mov_b32 v24, v51 :: v_dual_mov_b32 v25, v50
; %bb.217:                              ;   in Loop: Header=BB1_28 Depth=1
	s_or_b32 exec_lo, exec_lo, s15
.LBB1_218:                              ;   in Loop: Header=BB1_28 Depth=1
	s_delay_alu instid0(SALU_CYCLE_1)
	s_or_b32 exec_lo, exec_lo, s9
.LBB1_219:                              ;   in Loop: Header=BB1_28 Depth=1
	s_delay_alu instid0(SALU_CYCLE_1)
	s_or_b32 exec_lo, exec_lo, s8
                                        ; implicit-def: $vgpr10
                                        ; implicit-def: $vgpr67
.LBB1_220:                              ;   in Loop: Header=BB1_28 Depth=1
	s_and_not1_saveexec_b32 s8, s12
	s_cbranch_execz .LBB1_25
; %bb.221:                              ;   in Loop: Header=BB1_28 Depth=1
	s_mov_b32 s9, exec_lo
                                        ; implicit-def: $vgpr24
                                        ; implicit-def: $vgpr25
	v_cmpx_lt_i32_e32 3, v10
	s_xor_b32 s9, exec_lo, s9
	s_cbranch_execz .LBB1_235
; %bb.222:                              ;   in Loop: Header=BB1_28 Depth=1
	s_mov_b32 s12, exec_lo
                                        ; implicit-def: $vgpr24
                                        ; implicit-def: $vgpr25
	v_cmpx_lt_i32_e32 5, v10
	s_xor_b32 s12, exec_lo, s12
	;; [unrolled: 7-line block ×3, first 2 shown]
	s_cbranch_execz .LBB1_227
; %bb.224:                              ;   in Loop: Header=BB1_28 Depth=1
	s_mov_b32 s16, exec_lo
	v_cmpx_lt_i32_e32 7, v10
	s_xor_b32 s16, exec_lo, s16
	s_delay_alu instid0(SALU_CYCLE_1)
	s_or_saveexec_b32 s16, s16
	v_dual_mov_b32 v24, v53 :: v_dual_mov_b32 v25, v52
	s_xor_b32 exec_lo, exec_lo, s16
; %bb.225:                              ;   in Loop: Header=BB1_28 Depth=1
	v_dual_mov_b32 v24, v55 :: v_dual_mov_b32 v25, v54
; %bb.226:                              ;   in Loop: Header=BB1_28 Depth=1
	s_or_b32 exec_lo, exec_lo, s16
.LBB1_227:                              ;   in Loop: Header=BB1_28 Depth=1
	s_and_not1_saveexec_b32 s15, s15
; %bb.228:                              ;   in Loop: Header=BB1_28 Depth=1
	v_dual_mov_b32 v24, v57 :: v_dual_mov_b32 v25, v56
; %bb.229:                              ;   in Loop: Header=BB1_28 Depth=1
	s_or_b32 exec_lo, exec_lo, s15
                                        ; implicit-def: $vgpr10
.LBB1_230:                              ;   in Loop: Header=BB1_28 Depth=1
	s_and_not1_saveexec_b32 s12, s12
	s_cbranch_execz .LBB1_234
; %bb.231:                              ;   in Loop: Header=BB1_28 Depth=1
	s_mov_b32 s15, exec_lo
	v_cmpx_lt_i32_e32 4, v10
	s_xor_b32 s15, exec_lo, s15
	s_delay_alu instid0(SALU_CYCLE_1)
	s_or_saveexec_b32 s15, s15
	v_dual_add_f32 v25, -1.0, v20 :: v_dual_mov_b32 v24, v0
	s_xor_b32 exec_lo, exec_lo, s15
; %bb.232:                              ;   in Loop: Header=BB1_28 Depth=1
	v_dual_mov_b32 v24, v35 :: v_dual_mov_b32 v25, v34
; %bb.233:                              ;   in Loop: Header=BB1_28 Depth=1
	s_or_b32 exec_lo, exec_lo, s15
.LBB1_234:                              ;   in Loop: Header=BB1_28 Depth=1
	s_delay_alu instid0(SALU_CYCLE_1)
	s_or_b32 exec_lo, exec_lo, s12
                                        ; implicit-def: $vgpr10
                                        ; implicit-def: $vgpr67
.LBB1_235:                              ;   in Loop: Header=BB1_28 Depth=1
	s_and_not1_saveexec_b32 s9, s9
	s_cbranch_execz .LBB1_24
; %bb.236:                              ;   in Loop: Header=BB1_28 Depth=1
	s_mov_b32 s12, exec_lo
                                        ; implicit-def: $vgpr24
                                        ; implicit-def: $vgpr25
	v_cmpx_lt_i32_e32 1, v10
	s_xor_b32 s12, exec_lo, s12
	s_cbranch_execz .LBB1_240
; %bb.237:                              ;   in Loop: Header=BB1_28 Depth=1
	s_mov_b32 s15, exec_lo
	v_cmpx_lt_i32_e32 2, v10
	s_xor_b32 s15, exec_lo, s15
	s_delay_alu instid0(SALU_CYCLE_1)
	s_or_saveexec_b32 s15, s15
	v_dual_mov_b32 v24, v61 :: v_dual_mov_b32 v25, v1
	s_xor_b32 exec_lo, exec_lo, s15
; %bb.238:                              ;   in Loop: Header=BB1_28 Depth=1
	v_dual_mov_b32 v24, v4 :: v_dual_mov_b32 v25, v81
; %bb.239:                              ;   in Loop: Header=BB1_28 Depth=1
	s_or_b32 exec_lo, exec_lo, s15
                                        ; implicit-def: $vgpr67
                                        ; implicit-def: $vgpr10
.LBB1_240:                              ;   in Loop: Header=BB1_28 Depth=1
	s_and_not1_saveexec_b32 s12, s12
	s_cbranch_execz .LBB1_23
; %bb.241:                              ;   in Loop: Header=BB1_28 Depth=1
	s_mov_b32 s15, exec_lo
	v_cmpx_lt_i32_e32 0, v10
	s_xor_b32 s15, exec_lo, s15
; %bb.242:                              ;   in Loop: Header=BB1_28 Depth=1
                                        ; implicit-def: $vgpr67
                                        ; implicit-def: $vgpr10
; %bb.243:                              ;   in Loop: Header=BB1_28 Depth=1
	s_delay_alu instid0(SALU_CYCLE_1)
	s_or_saveexec_b32 s15, s15
	v_dual_mov_b32 v24, v84 :: v_dual_mov_b32 v25, v83
	s_xor_b32 exec_lo, exec_lo, s15
	s_cbranch_execz .LBB1_22
; %bb.244:                              ;   in Loop: Header=BB1_28 Depth=1
	s_mov_b32 s16, exec_lo
	v_cmpx_eq_u32_e32 0, v10
	s_cbranch_execz .LBB1_21
; %bb.245:                              ;   in Loop: Header=BB1_28 Depth=1
	s_wait_loadcnt 0x0
	v_dual_mov_b32 v67, v19 :: v_dual_mov_b32 v66, v18
	s_branch .LBB1_21
.LBB1_246:
	scratch_load_b64 v[0:1], off, off offset:16 th:TH_LOAD_LU ; 8-byte Folded Reload
	s_mov_b32 s0, 0.5
	s_wait_loadcnt 0x0
	v_lshl_add_u64 v[4:5], v[0:1], 2, s[26:27]
	s_delay_alu instid0(VALU_DEP_1)
	v_mad_nc_u64_u32 v[6:7], v0, 20, v[4:5]
	s_clause 0x2
	global_load_b128 v[0:3], v[6:7], off offset:1360
	global_load_b64 v[8:9], v[6:7], off offset:1376
	global_load_b32 v10, v[4:5], off offset:800
	s_wait_xcnt 0x0
	v_cvt_f16_i16_e32 v5, v17
	s_wait_loadcnt 0x1
	v_dual_mul_f32 v1, v58, v1 :: v_dual_mul_f32 v4, v58, v8
	s_delay_alu instid0(VALU_DEP_1) | instskip(NEXT) | instid1(VALU_DEP_3)
	v_dual_fmac_f32 v1, v59, v0 :: v_dual_fmac_f32 v4, v59, v3
	v_cvt_f32_f16_e32 v0, v5
	s_delay_alu instid0(VALU_DEP_2) | instskip(SKIP_1) | instid1(VALU_DEP_2)
	v_dual_add_f32 v1, v2, v1 :: v_dual_add_f32 v2, v9, v4
	s_wait_loadcnt 0x0
	v_add_f32_e32 v0, v10, v0
	s_delay_alu instid0(VALU_DEP_2) | instskip(NEXT) | instid1(VALU_DEP_3)
	v_cvt_f16_f32_e32 v1, v1
	v_cvt_f16_f32_e32 v2, v2
	s_delay_alu instid0(VALU_DEP_3) | instskip(NEXT) | instid1(VALU_DEP_3)
	v_fma_mixlo_f16 v0, v0, s0, 0
	v_cvt_i16_f16_e32 v1, v1
	s_delay_alu instid0(VALU_DEP_3) | instskip(NEXT) | instid1(VALU_DEP_3)
	v_cvt_i16_f16_e32 v2, v2
	v_cvt_i16_f16_e32 v0, v0
	s_delay_alu instid0(VALU_DEP_2)
	v_perm_b32 v1, v2, v1, 0x5040100
	scratch_load_b64 v[2:3], off, off th:TH_LOAD_LU ; 8-byte Folded Reload
	s_wait_loadcnt 0x0
	global_store_b16 v[2:3], v0, off
	scratch_load_b64 v[2:3], off, off offset:8 th:TH_LOAD_LU ; 8-byte Folded Reload
	s_wait_loadcnt 0x0
	global_store_b32 v[2:3], v1, off
	s_sendmsg sendmsg(MSG_DEALLOC_VGPRS)
	s_endpgm
	.section	.rodata,"a",@progbits
	.p2align	6, 0x0
	.amdhsa_kernel _Z14kernel_iterateP15HIP_vector_typeIsLj2EEPsPKtiPKf14ConstMemParams
		.amdhsa_group_segment_fixed_size 0
		.amdhsa_private_segment_fixed_size 64
		.amdhsa_kernarg_size 2224
		.amdhsa_user_sgpr_count 2
		.amdhsa_user_sgpr_dispatch_ptr 0
		.amdhsa_user_sgpr_queue_ptr 0
		.amdhsa_user_sgpr_kernarg_segment_ptr 1
		.amdhsa_user_sgpr_dispatch_id 0
		.amdhsa_user_sgpr_kernarg_preload_length 0
		.amdhsa_user_sgpr_kernarg_preload_offset 0
		.amdhsa_user_sgpr_private_segment_size 0
		.amdhsa_wavefront_size32 1
		.amdhsa_uses_dynamic_stack 0
		.amdhsa_enable_private_segment 1
		.amdhsa_system_sgpr_workgroup_id_x 1
		.amdhsa_system_sgpr_workgroup_id_y 0
		.amdhsa_system_sgpr_workgroup_id_z 0
		.amdhsa_system_sgpr_workgroup_info 0
		.amdhsa_system_vgpr_workitem_id 0
		.amdhsa_next_free_vgpr 128
		.amdhsa_next_free_sgpr 56
		.amdhsa_named_barrier_count 0
		.amdhsa_reserve_vcc 1
		.amdhsa_float_round_mode_32 0
		.amdhsa_float_round_mode_16_64 0
		.amdhsa_float_denorm_mode_32 3
		.amdhsa_float_denorm_mode_16_64 3
		.amdhsa_fp16_overflow 0
		.amdhsa_memory_ordered 1
		.amdhsa_forward_progress 1
		.amdhsa_inst_pref_size 255
		.amdhsa_round_robin_scheduling 0
		.amdhsa_exception_fp_ieee_invalid_op 0
		.amdhsa_exception_fp_denorm_src 0
		.amdhsa_exception_fp_ieee_div_zero 0
		.amdhsa_exception_fp_ieee_overflow 0
		.amdhsa_exception_fp_ieee_underflow 0
		.amdhsa_exception_fp_ieee_inexact 0
		.amdhsa_exception_int_div_zero 0
	.end_amdhsa_kernel
	.text
.Lfunc_end1:
	.size	_Z14kernel_iterateP15HIP_vector_typeIsLj2EEPsPKtiPKf14ConstMemParams, .Lfunc_end1-_Z14kernel_iterateP15HIP_vector_typeIsLj2EEPsPKtiPKf14ConstMemParams
                                        ; -- End function
	.set _Z14kernel_iterateP15HIP_vector_typeIsLj2EEPsPKtiPKf14ConstMemParams.num_vgpr, 128
	.set _Z14kernel_iterateP15HIP_vector_typeIsLj2EEPsPKtiPKf14ConstMemParams.num_agpr, 0
	.set _Z14kernel_iterateP15HIP_vector_typeIsLj2EEPsPKtiPKf14ConstMemParams.numbered_sgpr, 56
	.set _Z14kernel_iterateP15HIP_vector_typeIsLj2EEPsPKtiPKf14ConstMemParams.num_named_barrier, 0
	.set _Z14kernel_iterateP15HIP_vector_typeIsLj2EEPsPKtiPKf14ConstMemParams.private_seg_size, 64
	.set _Z14kernel_iterateP15HIP_vector_typeIsLj2EEPsPKtiPKf14ConstMemParams.uses_vcc, 1
	.set _Z14kernel_iterateP15HIP_vector_typeIsLj2EEPsPKtiPKf14ConstMemParams.uses_flat_scratch, 0
	.set _Z14kernel_iterateP15HIP_vector_typeIsLj2EEPsPKtiPKf14ConstMemParams.has_dyn_sized_stack, 0
	.set _Z14kernel_iterateP15HIP_vector_typeIsLj2EEPsPKtiPKf14ConstMemParams.has_recursion, 0
	.set _Z14kernel_iterateP15HIP_vector_typeIsLj2EEPsPKtiPKf14ConstMemParams.has_indirect_call, 0
	.section	.AMDGPU.csdata,"",@progbits
; Kernel info:
; codeLenInByte = 44868
; TotalNumSgprs: 58
; NumVgprs: 128
; ScratchSize: 64
; MemoryBound: 0
; FloatMode: 240
; IeeeMode: 1
; LDSByteSize: 0 bytes/workgroup (compile time only)
; SGPRBlocks: 0
; VGPRBlocks: 7
; NumSGPRsForWavesPerEU: 58
; NumVGPRsForWavesPerEU: 128
; NamedBarCnt: 0
; Occupancy: 8
; WaveLimiterHint : 1
; COMPUTE_PGM_RSRC2:SCRATCH_EN: 1
; COMPUTE_PGM_RSRC2:USER_SGPR: 2
; COMPUTE_PGM_RSRC2:TRAP_HANDLER: 0
; COMPUTE_PGM_RSRC2:TGID_X_EN: 1
; COMPUTE_PGM_RSRC2:TGID_Y_EN: 0
; COMPUTE_PGM_RSRC2:TGID_Z_EN: 0
; COMPUTE_PGM_RSRC2:TIDIG_COMP_CNT: 0
	.text
	.protected	_Z22kernel_generate_pointsP15HIP_vector_typeIfLj3EEPS_IsLj2EEPsPKtiPKf14ConstMemParams ; -- Begin function _Z22kernel_generate_pointsP15HIP_vector_typeIfLj3EEPS_IsLj2EEPsPKtiPKf14ConstMemParams
	.globl	_Z22kernel_generate_pointsP15HIP_vector_typeIfLj3EEPS_IsLj2EEPsPKtiPKf14ConstMemParams
	.p2align	8
	.type	_Z22kernel_generate_pointsP15HIP_vector_typeIfLj3EEPS_IsLj2EEPsPKtiPKf14ConstMemParams,@function
_Z22kernel_generate_pointsP15HIP_vector_typeIfLj3EEPS_IsLj2EEPsPKtiPKf14ConstMemParams: ; @_Z22kernel_generate_pointsP15HIP_vector_typeIfLj3EEPS_IsLj2EEPsPKtiPKf14ConstMemParams
; %bb.0:
	s_clause 0x2
	s_load_b32 s2, s[0:1], 0x7c4
	s_load_b32 s6, s[0:1], 0x790
	s_load_b64 s[28:29], s[0:1], 0x760
	s_bfe_u32 s3, ttmp6, 0x4000c
	s_and_b32 s4, ttmp6, 15
	s_add_co_i32 s3, s3, 1
	s_getreg_b32 s5, hwreg(HW_REG_IB_STS2, 6, 4)
	s_mul_i32 s3, ttmp9, s3
	s_load_b256 s[36:43], s[0:1], 0x0
	s_add_co_i32 s4, s4, s3
	s_mov_b32 s31, 0
	s_mov_b32 s33, 0x3b2d2a58
	;; [unrolled: 1-line block ×3, first 2 shown]
	s_mov_b64 s[34:35], 0xfe5163ab
	s_mov_b32 s44, 0x3fc90fda
	s_mov_b32 s46, 0x33a22168
	;; [unrolled: 1-line block ×6, first 2 shown]
	s_wait_kmcnt 0x0
	s_and_b32 s2, s2, 0xffff
	s_cmp_eq_u32 s5, 0
	s_mov_b32 s56, 0x37d75334
	s_cselect_b32 s3, ttmp9, s4
	s_mov_b32 s51, 0x3ab42872
	v_mad_u32 v98, s3, s2, v0
	s_add_nc_u64 s[2:3], s[0:1], 48
	s_mov_b32 s45, -1.0
	s_mov_b32 s58, 0xbc8cedd3
	s_mov_b32 s53, 0x3c971480
	;; [unrolled: 1-line block ×8, first 2 shown]
	v_and_b32_e32 v4, 0xffffffe0, v98
	v_lshl_add_u32 v10, s28, 7, v98
	v_and_b32_e32 v14, 0x3fffff, v98
	s_mov_b32 s68, 0xbab64f3b
	s_mov_b32 s28, 0x3d2aabf7
	v_cmp_gt_i32_e32 vcc_lo, s6, v4
	s_mov_b32 s70, 0xbf000004
	s_mov_b32 s59, 0
	v_dual_mov_b32 v29, 0 :: v_dual_mov_b32 v17, -1.0
	v_cndmask_b32_e64 v1, 15, 5, vcc_lo
	v_cndmask_b32_e64 v0, 11, 0, vcc_lo
	;; [unrolled: 1-line block ×3, first 2 shown]
	s_delay_alu instid0(VALU_DEP_4)
	v_dual_mov_b32 v23, v29 :: v_dual_mov_b32 v11, 1.0
	global_load_b32 v2, v1, s[2:3] offset:1848 scale_offset
	v_mov_b32_e32 v13, 2.0
	s_wait_loadcnt 0x0
	v_cmp_gt_i32_e32 vcc_lo, v2, v4
	v_dual_add_nc_u32 v5, 1, v1 :: v_dual_cndmask_b32 v1, v3, v1, vcc_lo
	s_delay_alu instid0(VALU_DEP_1) | instskip(NEXT) | instid1(VALU_DEP_1)
	v_cndmask_b32_e32 v0, v5, v0, vcc_lo
	v_add_nc_u16 v2, v0, v1
	s_delay_alu instid0(VALU_DEP_1) | instskip(NEXT) | instid1(VALU_DEP_1)
	v_lshrrev_b16 v2, 1, v2
	v_and_b32_e32 v2, 0xffff, v2
	global_load_b32 v3, v2, s[2:3] offset:1848 scale_offset
	v_add_nc_u32_e32 v5, 1, v2
	s_wait_loadcnt 0x0
	v_cmp_gt_i32_e32 vcc_lo, v3, v4
	s_delay_alu instid0(VALU_DEP_2) | instskip(SKIP_1) | instid1(VALU_DEP_1)
	v_cndmask_b32_e32 v0, v5, v0, vcc_lo
	v_cndmask_b32_e32 v2, v1, v2, vcc_lo
	v_add_nc_u32_e32 v1, v0, v2
	s_delay_alu instid0(VALU_DEP_1)
	v_lshrrev_b32_e32 v3, 1, v1
	global_load_b32 v1, v3, s[2:3] offset:1848 scale_offset
	v_add_nc_u32_e32 v5, 1, v3
	s_wait_loadcnt 0x0
	v_cmp_gt_i32_e32 vcc_lo, v1, v4
	v_dual_mov_b32 v1, v29 :: v_dual_cndmask_b32 v28, v2, v3
	s_delay_alu instid0(VALU_DEP_3) | instskip(NEXT) | instid1(VALU_DEP_1)
	v_cndmask_b32_e32 v0, v5, v0, vcc_lo
	v_add_nc_u64_e32 v[2:3], v[0:1], v[28:29]
	s_delay_alu instid0(VALU_DEP_1) | instskip(SKIP_1) | instid1(VALU_DEP_1)
	v_lshrrev_b64 v[6:7], 1, v[2:3]
	v_alignbit_b32 v2, v3, v2, 1
	v_add_nc_u32_e32 v3, 1, v2
	s_delay_alu instid0(VALU_DEP_3)
	v_lshl_add_u64 v[6:7], v[6:7], 2, s[2:3]
	global_load_b32 v1, v[6:7], off offset:1848
	s_wait_loadcnt 0x0
	v_cmp_gt_i32_e32 vcc_lo, v1, v4
	v_mul_hi_i32 v4, 0x55555556, v98
	v_dual_mov_b32 v15, 0x3f317218 :: v_dual_cndmask_b32 v0, v3, v0
	v_cndmask_b32_e32 v1, v28, v2, vcc_lo
	v_mov_b64_e32 v[2:3], 0x40490fdb40000000
	s_delay_alu instid0(VALU_DEP_2) | instskip(NEXT) | instid1(VALU_DEP_1)
	v_dual_add_nc_u32 v0, v0, v1 :: v_dual_lshrrev_b32 v12, 31, v4
	v_dual_mov_b32 v27, v29 :: v_dual_lshrrev_b32 v28, 1, v0
	s_delay_alu instid0(VALU_DEP_1)
	v_mad_nc_u64_u32 v[0:1], v28, 24, s[2:3]
	v_mul_u64_e32 v[18:19], 20, v[28:29]
	v_and_b32_e32 v5, 0xff, v28
	s_clause 0x1
	global_load_b128 v[32:35], v[0:1], off offset:880
	global_load_b64 v[38:39], v[0:1], off offset:896
	v_lshl_add_u64 v[20:21], v[28:29], 4, v[0:1]
	s_wait_xcnt 0x0
	v_and_b32_e32 v0, 0x3fffff, v10
	v_dual_add_nc_u32 v1, v4, v12 :: v_dual_lshlrev_b32 v22, 2, v14
	s_clause 0x1
	s_load_b32 s57, s[0:1], 0x20
	s_load_b64 s[2:3], s[0:1], 0x28
	v_mul_lo_u16 v5, 0xab, v5
	v_lshlrev_b32_e32 v26, 2, v0
	v_lshl_add_u32 v0, v1, 1, v1
	v_mad_nc_i64_i32 v[30:31], 0xffffffdc, v28, v[20:21]
	s_delay_alu instid0(VALU_DEP_4) | instskip(NEXT) | instid1(VALU_DEP_3)
	v_lshrrev_b16 v5, 9, v5
	v_sub_nc_u32_e32 v0, v98, v0
	s_delay_alu instid0(VALU_DEP_2)
	v_mul_lo_u16 v4, v5, 3
	scratch_store_b32 off, v0, off offset:92 ; 4-byte Folded Spill
	s_wait_kmcnt 0x0
	v_add_nc_u64_e32 v[24:25], s[2:3], v[22:23]
	s_wait_loadcnt 0x1
	v_pk_mul_f32 v[2:3], v[34:35], v[2:3] op_sel_hi:[0,1]
	s_delay_alu instid0(VALU_DEP_1) | instskip(NEXT) | instid1(VALU_DEP_1)
	v_pk_mul_f32 v[8:9], v[34:35], v[2:3] op_sel_hi:[0,1]
	v_cvt_f64_f32_e64 v[2:3], |v9|
	s_delay_alu instid0(VALU_DEP_2) | instskip(SKIP_2) | instid1(VALU_DEP_4)
	v_cvt_f64_f32_e64 v[6:7], |v8|
	v_cmp_eq_f32_e64 s0, 0, v9
	v_cmp_o_f32_e64 s1, v9, v9
	v_frexp_exp_i32_f64_e32 v1, v[2:3]
	v_add_nc_u64_e32 v[2:3], s[2:3], v[26:27]
	v_cmp_eq_f32_e64 s2, 0, v8
	v_cmp_o_f32_e64 s3, v8, v8
	s_clause 0x1
	scratch_store_b64 off, v[2:3], off offset:84
	scratch_store_b32 off, v1, off offset:16
	s_wait_xcnt 0x0
	v_frexp_exp_i32_f64_e32 v1, v[6:7]
	scratch_store_b32 off, v1, off offset:12 ; 4-byte Folded Spill
	s_wait_xcnt 0x0
	v_sub_nc_u16 v1, v28, v4
	s_delay_alu instid0(VALU_DEP_1)
	v_and_b32_e32 v0, 0xff, v1
	s_clause 0x1
	scratch_store_b32 off, v0, off offset:96
	scratch_store_b64 off, v[30:31], off offset:52
	s_wait_xcnt 0x1
	v_add_nc_u64_e32 v[0:1], v[30:31], v[18:19]
	s_wait_loadcnt 0x0
	v_dual_mov_b32 v30, v34 :: v_dual_mov_b32 v31, v39
	scratch_store_b64 off, v[0:1], off offset:60 ; 8-byte Folded Spill
	s_wait_xcnt 0x0
	v_dual_mov_b32 v0, v32 :: v_dual_mov_b32 v1, v38
	v_pk_mul_f32 v[36:37], v[30:31], v[30:31]
	v_mov_b32_e32 v34, v33
	scratch_store_b64 off, v[0:1], off offset:68 ; 8-byte Folded Spill
	s_wait_xcnt 0x0
	v_dual_mov_b32 v0, v33 :: v_dual_mov_b32 v38, v36
	s_clause 0x1
	scratch_store_b128 off, v[32:35], off offset:28
	scratch_store_b64 off, v[0:1], off offset:76
	s_wait_xcnt 0x0
	v_frexp_mant_f32_e64 v0, |v9|
	v_frexp_mant_f32_e64 v1, |v8|
	scratch_store_b64 off, v[38:39], off offset:44 ; 8-byte Folded Spill
	v_ldexp_f32 v103, v0, 1
	v_ldexp_f32 v104, v1, 1
	v_mov_b32_e32 v1, 0x3f2aaaaa
	s_delay_alu instid0(VALU_DEP_3) | instskip(NEXT) | instid1(VALU_DEP_2)
	v_rcp_f32_e32 v112, v103
	v_rcp_f32_e32 v107, v104
	s_branch .LBB2_2
.LBB2_1:                                ;   in Loop: Header=BB2_2 Depth=1
	scratch_load_b64 v[4:5], off, off offset:60 ; 8-byte Folded Reload
	v_cvt_f16_i16_e32 v6, v108
	s_wait_loadcnt 0x0
	s_clause 0x1
	global_load_b64 v[2:3], v[4:5], off offset:1376
	global_load_b128 v[32:35], v[4:5], off offset:1360
	scratch_load_b64 v[4:5], off, off offset:52 ; 8-byte Folded Reload
	s_wait_loadcnt 0x1
	v_mov_b32_e32 v7, v33
	s_wait_loadcnt 0x0
	global_load_b32 v0, v[4:5], off offset:800
	s_wait_xcnt 0x0
	v_dual_mov_b32 v4, v2 :: v_dual_mov_b32 v5, v32
	v_cvt_f32_f16_e32 v2, v6
	v_dual_mov_b32 v6, v35 :: v_dual_mov_b32 v35, v3
	s_delay_alu instid0(VALU_DEP_3) | instskip(NEXT) | instid1(VALU_DEP_1)
	v_pk_mul_f32 v[4:5], v[78:79], v[4:5] op_sel:[1,0] op_sel_hi:[0,1]
	v_pk_fma_f32 v[6:7], v[78:79], v[6:7], v[4:5]
	s_wait_loadcnt 0x0
	v_add_f32_e32 v0, v0, v2
	s_delay_alu instid0(VALU_DEP_2) | instskip(NEXT) | instid1(VALU_DEP_2)
	v_pk_add_f32 v[2:3], v[34:35], v[6:7] op_sel:[0,1] op_sel_hi:[1,0]
	v_mul_f32_e32 v4, 0.5, v0
	v_lshl_add_u32 v0, s59, 14, v98
	s_add_co_i32 s59, s59, 1
	s_delay_alu instid0(SALU_CYCLE_1)
	s_cmp_eq_u32 s59, 64
	global_store_b96 v0, v[2:4], s[36:37] scale_offset
	s_cbranch_scc1 .LBB2_252
.LBB2_2:                                ; =>This Loop Header: Depth=1
                                        ;     Child Loop BB2_34 Depth 2
                                        ;       Child Loop BB2_154 Depth 3
                                        ;       Child Loop BB2_167 Depth 3
	s_add_co_i32 s4, s59, s57
                                        ; implicit-def: $vgpr39
	s_delay_alu instid0(SALU_CYCLE_1) | instskip(NEXT) | instid1(SALU_CYCLE_1)
	s_ashr_i32 s5, s4, 31
	s_lshr_b32 s5, s5, 21
	s_delay_alu instid0(SALU_CYCLE_1) | instskip(NEXT) | instid1(SALU_CYCLE_1)
	s_add_co_i32 s5, s4, s5
	s_and_b32 s5, s5, 0x3f800
	s_delay_alu instid0(SALU_CYCLE_1)
	s_sub_co_i32 s4, s4, s5
	s_cmp_lt_i32 s29, 2
	s_wait_xcnt 0x0
	v_lshl_add_u32 v0, s4, 14, v98
	s_mov_b32 s4, -1
	global_load_u16 v0, v0, s[42:43] scale_offset
	s_wait_loadcnt 0x0
	s_wait_xcnt 0x0
	v_and_b32_e32 v0, 0xffff, v0
	s_clause 0x1
	global_load_b32 v2, v0, s[38:39] scale_offset
	global_load_u16 v108, v0, s[40:41] scale_offset
	s_wait_loadcnt 0x1
	v_lshrrev_b32_e32 v3, 16, v2
	v_cvt_f16_i16_e32 v2, v2
	s_delay_alu instid0(VALU_DEP_2) | instskip(NEXT) | instid1(VALU_DEP_2)
	v_cvt_f16_i16_e32 v3, v3
	v_cvt_f32_f16_e32 v2, v2
	s_delay_alu instid0(VALU_DEP_2)
	v_cvt_f32_f16_e32 v3, v3
	s_cbranch_scc1 .LBB2_14
; %bb.3:                                ;   in Loop: Header=BB2_2 Depth=1
	s_delay_alu instid0(VALU_DEP_1)
	v_dual_mov_b32 v39, v3 :: v_dual_mov_b32 v38, v2
	s_cmp_eq_u32 s29, 2
	s_cbranch_scc0 .LBB2_13
; %bb.4:                                ;   in Loop: Header=BB2_2 Depth=1
	scratch_load_b32 v0, off, off offset:96 ; 4-byte Folded Reload
	v_mul_f32_e32 v39, 0.5, v3
	s_mov_b32 s4, exec_lo
	s_wait_loadcnt 0x0
	v_cmpx_lt_i16_e32 1, v0
	s_xor_b32 s4, exec_lo, s4
	s_cbranch_execz .LBB2_8
; %bb.5:                                ;   in Loop: Header=BB2_2 Depth=1
	scratch_load_b32 v0, off, off offset:96 ; 4-byte Folded Reload
	s_mov_b32 s5, exec_lo
	s_wait_loadcnt 0x0
	v_cmpx_eq_u16_e32 2, v0
; %bb.6:                                ;   in Loop: Header=BB2_2 Depth=1
	v_add_f32_e32 v39, 0.5, v39
; %bb.7:                                ;   in Loop: Header=BB2_2 Depth=1
	s_or_b32 exec_lo, exec_lo, s5
.LBB2_8:                                ;   in Loop: Header=BB2_2 Depth=1
	s_or_saveexec_b32 s4, s4
	v_mul_f32_e32 v38, 0.5, v2
	s_xor_b32 exec_lo, exec_lo, s4
	s_cbranch_execz .LBB2_12
; %bb.9:                                ;   in Loop: Header=BB2_2 Depth=1
	scratch_load_b32 v0, off, off offset:96 ; 4-byte Folded Reload
	s_mov_b32 s5, exec_lo
	s_wait_loadcnt 0x0
	v_cmpx_eq_u16_e32 1, v0
; %bb.10:                               ;   in Loop: Header=BB2_2 Depth=1
	v_add_f32_e32 v38, 0.5, v38
; %bb.11:                               ;   in Loop: Header=BB2_2 Depth=1
	s_or_b32 exec_lo, exec_lo, s5
.LBB2_12:                               ;   in Loop: Header=BB2_2 Depth=1
	s_delay_alu instid0(SALU_CYCLE_1)
	s_or_b32 exec_lo, exec_lo, s4
.LBB2_13:                               ;   in Loop: Header=BB2_2 Depth=1
	s_mov_b32 s4, 0
.LBB2_14:                               ;   in Loop: Header=BB2_2 Depth=1
	s_delay_alu instid0(SALU_CYCLE_1)
	s_and_not1_b32 vcc_lo, exec_lo, s4
	s_cbranch_vccnz .LBB2_26
; %bb.15:                               ;   in Loop: Header=BB2_2 Depth=1
	s_cmp_lg_u32 s29, 1
	s_cbranch_scc1 .LBB2_25
; %bb.16:                               ;   in Loop: Header=BB2_2 Depth=1
	scratch_load_b32 v0, off, off offset:92 ; 4-byte Folded Reload
	v_mul_f32_e32 v3, 0.5, v3
	s_mov_b32 s4, exec_lo
	s_wait_loadcnt 0x0
	v_cmpx_lt_i32_e32 1, v0
	s_xor_b32 s4, exec_lo, s4
	s_cbranch_execz .LBB2_20
; %bb.17:                               ;   in Loop: Header=BB2_2 Depth=1
	scratch_load_b32 v0, off, off offset:92 ; 4-byte Folded Reload
	s_mov_b32 s5, exec_lo
	s_wait_loadcnt 0x0
	v_cmpx_eq_u32_e32 2, v0
; %bb.18:                               ;   in Loop: Header=BB2_2 Depth=1
	v_add_f32_e32 v3, 0.5, v3
; %bb.19:                               ;   in Loop: Header=BB2_2 Depth=1
	s_or_b32 exec_lo, exec_lo, s5
.LBB2_20:                               ;   in Loop: Header=BB2_2 Depth=1
	s_or_saveexec_b32 s4, s4
	v_mul_f32_e32 v2, 0.5, v2
	s_xor_b32 exec_lo, exec_lo, s4
	s_cbranch_execz .LBB2_24
; %bb.21:                               ;   in Loop: Header=BB2_2 Depth=1
	scratch_load_b32 v0, off, off offset:92 ; 4-byte Folded Reload
	s_mov_b32 s5, exec_lo
	s_wait_loadcnt 0x0
	v_cmpx_eq_u32_e32 1, v0
; %bb.22:                               ;   in Loop: Header=BB2_2 Depth=1
	v_add_f32_e32 v2, 0.5, v2
; %bb.23:                               ;   in Loop: Header=BB2_2 Depth=1
	s_or_b32 exec_lo, exec_lo, s5
.LBB2_24:                               ;   in Loop: Header=BB2_2 Depth=1
	s_delay_alu instid0(SALU_CYCLE_1)
	s_or_b32 exec_lo, exec_lo, s4
.LBB2_25:                               ;   in Loop: Header=BB2_2 Depth=1
	s_delay_alu instid0(VALU_DEP_1)
	v_dual_mov_b32 v38, v2 :: v_dual_mov_b32 v39, v3
.LBB2_26:                               ;   in Loop: Header=BB2_2 Depth=1
	scratch_load_b128 v[4:7], off, off offset:28 ; 16-byte Folded Reload
	s_wait_loadcnt 0x0
	scratch_load_b64 v[4:5], off, off offset:68 ; 8-byte Folded Reload
	v_dual_mov_b32 v2, v39 :: v_dual_mov_b32 v3, v38
	s_mov_b32 s30, 0
	v_dual_mov_b32 v23, v29 :: v_dual_mov_b32 v27, v29
	v_dual_mov_b32 v33, v29 :: v_dual_mov_b32 v35, v29
	v_dual_mov_b32 v47, v29 :: v_dual_mov_b32 v51, v29
	v_dual_mov_b32 v53, v29 :: v_dual_mov_b32 v71, v29
	v_dual_mov_b32 v83, v29 :: v_dual_mov_b32 v101, v29
	v_mov_b32_e32 v117, v29
	v_pk_mul_f32 v[2:3], v[2:3], v[6:7]
	v_mov_b32_e32 v7, v29
	s_wait_loadcnt 0x0
	s_delay_alu instid0(VALU_DEP_2) | instskip(NEXT) | instid1(VALU_DEP_1)
	v_pk_fma_f32 v[2:3], v[38:39], v[4:5], v[2:3]
	v_pk_add_f32 v[38:39], v[30:31], v[2:3]
	s_delay_alu instid0(VALU_DEP_1)
	v_pk_mul_f32 v[42:43], v[38:39], v[38:39]
	v_and_b32_e32 v18, 0x7fffffff, v38
	v_and_b32_e32 v14, 0x7fffffff, v39
	v_mul_f32_e32 v67, 0x40490fdb, v38
	s_wait_xcnt 0x2
	v_dual_mul_f32 v91, 0x40490fdb, v39 :: v_dual_mov_b32 v0, v43
	v_and_or_b32 v28, v18, s49, 0x800000
	s_delay_alu instid0(VALU_DEP_3) | instskip(NEXT) | instid1(VALU_DEP_3)
	v_and_b32_e32 v69, 0x7fffffff, v67
	v_and_b32_e32 v92, 0x7fffffff, v91
	s_delay_alu instid0(VALU_DEP_4) | instskip(NEXT) | instid1(VALU_DEP_4)
	v_pk_fma_f32 v[74:75], v[38:39], v[38:39], v[0:1]
	v_mul_u64_e32 v[44:45], s[34:35], v[28:29]
	v_cmp_gt_f32_e64 s13, 0x48000000, |v67|
	v_cmp_class_f32_e64 s15, v67, 0x1f8
	s_delay_alu instid0(VALU_DEP_4) | instskip(SKIP_1) | instid1(VALU_DEP_1)
	v_cmp_gt_f32_e32 vcc_lo, 0xf800000, v74
	v_mul_f32_e32 v0, 0x4f800000, v74
	v_cndmask_b32_e32 v0, v74, v0, vcc_lo
	s_delay_alu instid0(VALU_DEP_1) | instskip(SKIP_1) | instid1(TRANS32_DEP_1)
	v_sqrt_f32_e32 v2, v0
	v_nop
	v_add_nc_u32_e32 v3, -1, v2
	s_delay_alu instid0(VALU_DEP_1) | instskip(NEXT) | instid1(VALU_DEP_1)
	v_fma_f32 v4, -v3, v2, v0
	v_cmp_ge_f32_e64 s4, 0, v4
	v_dual_add_nc_u32 v4, 1, v2 :: v_dual_mov_b32 v6, v45
	s_delay_alu instid0(VALU_DEP_1) | instskip(NEXT) | instid1(VALU_DEP_2)
	v_dual_cndmask_b32 v3, v2, v3, s4 :: v_dual_fma_f32 v2, -v4, v2, v0
	v_mad_nc_u64_u32 v[6:7], 0x3c439041, v28, v[6:7]
	s_delay_alu instid0(VALU_DEP_2) | instskip(NEXT) | instid1(VALU_DEP_1)
	v_cmp_lt_f32_e64 s4, 0, v2
	v_cndmask_b32_e64 v2, v3, v4, s4
	v_cmp_gt_f32_e64 s4, 0x48000000, |v38|
	s_delay_alu instid0(VALU_DEP_2) | instskip(NEXT) | instid1(VALU_DEP_1)
	v_dual_mov_b32 v22, v7 :: v_dual_mul_f32 v3, 0x37800000, v2
	v_mad_nc_u64_u32 v[22:23], 0xdb629599, v28, v[22:23]
	s_delay_alu instid0(VALU_DEP_2) | instskip(SKIP_1) | instid1(VALU_DEP_1)
	v_cndmask_b32_e32 v2, v2, v3, vcc_lo
	v_cmp_class_f32_e64 vcc_lo, v0, 0x260
	v_dual_cndmask_b32 v40, v2, v0, vcc_lo :: v_dual_mov_b32 v26, v23
	s_delay_alu instid0(VALU_DEP_1) | instskip(NEXT) | instid1(VALU_DEP_2)
	v_div_scale_f32 v0, null, v40, v40, 1.0
	v_mad_nc_u64_u32 v[26:27], 0xf534ddc0, v28, v[26:27]
	v_mul_f32_e32 v109, v40, v40
	v_and_b32_e32 v78, 0x7fffffff, v40
	s_delay_alu instid0(VALU_DEP_4) | instskip(SKIP_2) | instid1(TRANS32_DEP_1)
	v_rcp_f32_e32 v2, v0
	v_add_f32_e32 v113, -1.0, v40
	v_cmp_gt_f32_e64 s24, 0x48000000, |v40|
	v_fma_f32 v3, -v0, v2, 1.0
	v_mov_b32_e32 v32, v27
	s_delay_alu instid0(VALU_DEP_2) | instskip(SKIP_1) | instid1(VALU_DEP_3)
	v_fmac_f32_e32 v2, v3, v2
	v_div_scale_f32 v3, vcc_lo, 1.0, v40, 1.0
	v_mad_nc_u64_u32 v[32:33], 0xfc2757d1, v28, v[32:33]
	s_delay_alu instid0(VALU_DEP_2) | instskip(NEXT) | instid1(VALU_DEP_1)
	v_mul_f32_e32 v4, v3, v2
	v_dual_fma_f32 v5, -v0, v4, v3 :: v_dual_mov_b32 v34, v33
	v_mov_b32_e32 v33, v29
	s_delay_alu instid0(VALU_DEP_2) | instskip(NEXT) | instid1(VALU_DEP_3)
	v_fmac_f32_e32 v4, v5, v2
	v_mad_nc_u64_u32 v[34:35], 0x4e441529, v28, v[34:35]
	s_delay_alu instid0(VALU_DEP_2) | instskip(SKIP_1) | instid1(VALU_DEP_2)
	v_fma_f32 v0, -v0, v4, v3
	v_max_num_f32_e64 v3, |v39|, |v38|
	v_div_fmas_f32 v0, v0, v2, v4
	s_delay_alu instid0(VALU_DEP_2) | instskip(SKIP_4) | instid1(VALU_DEP_4)
	v_frexp_exp_i32_f32_e32 v4, v3
	v_frexp_mant_f32_e32 v3, v3
	v_min_num_f32_e64 v2, |v39|, |v38|
	v_cmp_gt_f32_e64 vcc_lo, |v38|, |v39|
	v_dual_mov_b32 v46, v35 :: v_dual_mov_b32 v35, v29
	v_rcp_f32_e32 v3, v3
	s_delay_alu instid0(VALU_DEP_3) | instskip(SKIP_1) | instid1(VALU_DEP_3)
	v_frexp_exp_i32_f32_e32 v5, v2
	v_frexp_mant_f32_e32 v2, v2
	v_mad_nc_u64_u32 v[46:47], 0xa2f9836e, v28, v[46:47]
	v_and_or_b32 v28, v14, s49, 0x800000
	v_div_fixup_f32 v0, v0, v40, 1.0
	s_delay_alu instid0(TRANS32_DEP_1) | instid1(VALU_DEP_4)
	v_dual_mul_f32 v2, v2, v3 :: v_dual_sub_nc_u32 v3, v5, v4
	s_delay_alu instid0(VALU_DEP_1) | instskip(NEXT) | instid1(VALU_DEP_1)
	v_ldexp_f32 v2, v2, v3
	v_mul_f32_e32 v3, v2, v2
	s_delay_alu instid0(VALU_DEP_1) | instskip(NEXT) | instid1(VALU_DEP_1)
	v_fmaak_f32 v4, s33, v3, 0xbc7a590c
	v_fmaak_f32 v4, v3, v4, 0x3d29fb3f
	s_delay_alu instid0(VALU_DEP_1) | instskip(NEXT) | instid1(VALU_DEP_1)
	v_fmaak_f32 v4, v3, v4, 0xbd97d4d7
	v_fmaak_f32 v4, v3, v4, 0x3dd931b2
	s_delay_alu instid0(VALU_DEP_1) | instskip(NEXT) | instid1(VALU_DEP_1)
	v_fmaak_f32 v4, v3, v4, 0xbe1160e6
	v_fmaak_f32 v4, v3, v4, 0x3e4cb8bf
	s_delay_alu instid0(VALU_DEP_1) | instskip(NEXT) | instid1(VALU_DEP_1)
	v_fmaak_f32 v4, v3, v4, 0xbeaaaa62
	v_mul_f32_e32 v3, v3, v4
	s_delay_alu instid0(VALU_DEP_1) | instskip(NEXT) | instid1(VALU_DEP_1)
	v_fmac_f32_e32 v2, v2, v3
	v_sub_f32_e32 v3, 0x3fc90fdb, v2
	s_delay_alu instid0(VALU_DEP_1) | instskip(SKIP_1) | instid1(VALU_DEP_2)
	v_cndmask_b32_e32 v2, v2, v3, vcc_lo
	v_cmp_gt_f32_e32 vcc_lo, 0, v39
	v_sub_f32_e32 v3, 0x40490fdb, v2
	s_delay_alu instid0(VALU_DEP_1) | instskip(NEXT) | instid1(VALU_DEP_1)
	v_dual_cndmask_b32 v2, v2, v3 :: v_dual_lshrrev_b32 v3, 23, v18
	v_add_nc_u32_e32 v3, 0xffffff88, v3
	s_delay_alu instid0(VALU_DEP_1) | instskip(NEXT) | instid1(VALU_DEP_1)
	v_cmp_lt_u32_e64 s5, 63, v3
	v_cndmask_b32_e64 v4, 0, 0xffffffc0, s5
	v_dual_cndmask_b32 v5, v46, v32, s5 :: v_dual_cndmask_b32 v10, v47, v34, s5
	s_delay_alu instid0(VALU_DEP_2) | instskip(NEXT) | instid1(VALU_DEP_1)
	v_dual_cndmask_b32 v6, v26, v6, s5 :: v_dual_add_nc_u32 v3, v4, v3
	v_cmp_lt_u32_e64 s6, 31, v3
	s_delay_alu instid0(VALU_DEP_1) | instskip(NEXT) | instid1(VALU_DEP_1)
	v_cndmask_b32_e64 v4, 0, 0xffffffe0, s6
	v_add_nc_u32_e32 v3, v4, v3
	s_delay_alu instid0(VALU_DEP_1) | instskip(NEXT) | instid1(VALU_DEP_1)
	v_cmp_lt_u32_e64 s7, 31, v3
	v_cndmask_b32_e64 v4, 0, 0xffffffe0, s7
	s_delay_alu instid0(VALU_DEP_1) | instskip(NEXT) | instid1(VALU_DEP_1)
	v_dual_add_nc_u32 v3, v4, v3 :: v_dual_cndmask_b32 v4, v34, v26, s5
	v_cmp_eq_u32_e64 s8, 0, v3
	s_delay_alu instid0(VALU_DEP_2) | instskip(SKIP_3) | instid1(VALU_DEP_3)
	v_dual_cndmask_b32 v7, v5, v4, s6 :: v_dual_cndmask_b32 v5, v10, v5, s6
	v_dual_cndmask_b32 v10, v32, v22, s5 :: v_dual_sub_nc_u32 v3, 32, v3
	v_cndmask_b32_e64 v22, v22, v44, s5
	v_mul_u64_e32 v[44:45], s[34:35], v[28:29]
	v_dual_cndmask_b32 v5, v5, v7, s7 :: v_dual_cndmask_b32 v4, v4, v10, s6
	s_delay_alu instid0(VALU_DEP_1) | instskip(NEXT) | instid1(VALU_DEP_4)
	v_dual_cndmask_b32 v7, v7, v4, s7 :: v_dual_cndmask_b32 v10, v10, v6, s6
	v_cndmask_b32_e64 v6, v6, v22, s6
	v_cmp_class_f32_e64 s6, v38, 0x204
	s_delay_alu instid0(VALU_DEP_3) | instskip(NEXT) | instid1(VALU_DEP_1)
	v_alignbit_b32 v12, v5, v7, v3
	v_cndmask_b32_e64 v5, v12, v5, s8
	s_delay_alu instid0(VALU_DEP_1) | instskip(NEXT) | instid1(VALU_DEP_1)
	v_dual_cndmask_b32 v4, v4, v10, s7 :: v_dual_lshrrev_b32 v16, 29, v5
	v_alignbit_b32 v12, v7, v4, v3
	v_bfe_u32 v19, v5, 29, 1
	s_delay_alu instid0(VALU_DEP_2) | instskip(NEXT) | instid1(VALU_DEP_2)
	v_cndmask_b32_e64 v7, v12, v7, s8
	v_dual_sub_nc_u32 v23, 0, v19 :: v_dual_cndmask_b32 v6, v10, v6, s7
	s_delay_alu instid0(VALU_DEP_2) | instskip(NEXT) | instid1(VALU_DEP_2)
	v_alignbit_b32 v12, v5, v7, 30
	v_alignbit_b32 v3, v4, v6, v3
	s_delay_alu instid0(VALU_DEP_1) | instskip(NEXT) | instid1(VALU_DEP_1)
	v_dual_cndmask_b32 v3, v3, v4, s8 :: v_dual_bitop2_b32 v12, v12, v23 bitop3:0x14
	v_alignbit_b32 v4, v7, v3, 30
	s_delay_alu instid0(VALU_DEP_2) | instskip(SKIP_1) | instid1(VALU_DEP_3)
	v_clz_i32_u32_e32 v7, v12
	v_alignbit_b32 v3, v3, v6, 30
	v_xor_b32_e32 v4, v4, v23
	s_delay_alu instid0(VALU_DEP_3) | instskip(NEXT) | instid1(VALU_DEP_1)
	v_min_u32_e32 v7, 32, v7
	v_sub_nc_u32_e32 v10, 31, v7
	s_delay_alu instid0(VALU_DEP_1) | instskip(SKIP_1) | instid1(VALU_DEP_1)
	v_alignbit_b32 v12, v12, v4, v10
	v_xor_b32_e32 v3, v3, v23
	v_alignbit_b32 v3, v4, v3, v10
	s_delay_alu instid0(VALU_DEP_1) | instskip(NEXT) | instid1(VALU_DEP_1)
	v_alignbit_b32 v4, v12, v3, 9
	v_clz_i32_u32_e32 v6, v4
	s_delay_alu instid0(VALU_DEP_1) | instskip(NEXT) | instid1(VALU_DEP_1)
	v_min_u32_e32 v6, 32, v6
	v_not_b32_e32 v10, v6
	v_add_lshl_u32 v6, v6, v7, 23
	s_delay_alu instid0(VALU_DEP_2) | instskip(NEXT) | instid1(VALU_DEP_1)
	v_alignbit_b32 v3, v4, v3, v10
	v_dual_lshlrev_b32 v4, 31, v16 :: v_dual_lshrrev_b32 v3, 9, v3
	s_delay_alu instid0(VALU_DEP_1) | instskip(NEXT) | instid1(VALU_DEP_1)
	v_or_b32_e32 v10, 0x33000000, v4
	v_dual_sub_nc_u32 v6, v10, v6 :: v_dual_bitop2_b32 v4, 0.5, v4 bitop3:0x54
	s_delay_alu instid0(VALU_DEP_1) | instskip(SKIP_1) | instid1(VALU_DEP_1)
	v_dual_lshrrev_b32 v6, 9, v12 :: v_dual_bitop2_b32 v3, v6, v3 bitop3:0x54
	v_lshlrev_b32_e32 v7, 23, v7
	v_sub_nc_u32_e32 v4, v4, v7
	s_delay_alu instid0(VALU_DEP_1) | instskip(NEXT) | instid1(VALU_DEP_1)
	v_or_b32_e32 v4, v6, v4
	v_mul_f32_e32 v6, 0x3fc90fda, v4
	s_delay_alu instid0(VALU_DEP_1) | instskip(NEXT) | instid1(VALU_DEP_1)
	v_fma_f32 v7, 0x3fc90fda, v4, -v6
	v_dual_fmac_f32 v7, 0x33a22168, v4 :: v_dual_lshrrev_b32 v4, 30, v5
	v_mul_f32_e64 v5, 0x3f22f983, |v38|
	s_delay_alu instid0(VALU_DEP_2) | instskip(NEXT) | instid1(VALU_DEP_2)
	v_dual_fmac_f32 v7, 0x3fc90fda, v3 :: v_dual_add_nc_u32 v4, v19, v4
	v_rndne_f32_e32 v5, v5
	s_delay_alu instid0(VALU_DEP_2) | instskip(NEXT) | instid1(VALU_DEP_2)
	v_add_f32_e32 v3, v6, v7
	v_fma_f32 v6, 0xbfc90fda, v5, |v38|
	s_delay_alu instid0(VALU_DEP_1) | instskip(NEXT) | instid1(VALU_DEP_1)
	v_fmac_f32_e32 v6, 0xb3a22168, v5
	v_fmac_f32_e32 v6, 0xa7c234c4, v5
	v_cvt_i32_f32_e32 v5, v5
	s_delay_alu instid0(VALU_DEP_1) | instskip(SKIP_1) | instid1(VALU_DEP_2)
	v_dual_cndmask_b32 v19, v3, v6, s4 :: v_dual_cndmask_b32 v26, v4, v5, s4
	v_cmp_gt_i32_e64 s4, 0, v39
	v_mul_f32_e32 v3, v19, v19
	s_delay_alu instid0(VALU_DEP_1) | instskip(NEXT) | instid1(VALU_DEP_1)
	v_fmaak_f32 v4, s54, v3, 0x3c0881c4
	v_fmaak_f32 v4, v3, v4, 0xbe2aaa9d
	s_delay_alu instid0(VALU_DEP_1) | instskip(NEXT) | instid1(VALU_DEP_1)
	v_mul_f32_e32 v4, v3, v4
	v_dual_fmac_f32 v19, v19, v4 :: v_dual_fmaak_f32 v4, s56, v3, 0xbab64f3b
	s_delay_alu instid0(VALU_DEP_1) | instskip(NEXT) | instid1(VALU_DEP_1)
	v_fmaak_f32 v4, v3, v4, 0x3d2aabf7
	v_fmaak_f32 v4, v3, v4, 0xbf000004
	s_delay_alu instid0(VALU_DEP_1) | instskip(SKIP_1) | instid1(VALU_DEP_1)
	v_fma_f32 v23, v3, v4, 1.0
	v_and_b32_e32 v3, 1, v26
	v_cmp_eq_u32_e64 s5, 0, v3
	v_cndmask_b32_e64 v3, 0, 0x40490fdb, s4
	v_cmp_eq_f32_e64 s4, 0, v38
	s_delay_alu instid0(VALU_DEP_3) | instskip(SKIP_1) | instid1(VALU_DEP_3)
	v_cndmask_b32_e64 v22, v23, v19, s5
	v_cndmask_b32_e64 v19, -v19, v23, s5
	v_cndmask_b32_e64 v2, v2, v3, s4
	v_mov_b32_e32 v3, 0x4016cbe4
	v_cmp_class_f32_e64 s4, v39, 0x204
	s_delay_alu instid0(VALU_DEP_2) | instskip(SKIP_2) | instid1(VALU_DEP_2)
	v_cndmask_b32_e32 v3, 0x3f490fdb, v3, vcc_lo
	s_and_b32 vcc_lo, s6, s4
	v_cmp_gt_f32_e64 s4, 0x48000000, |v39|
	v_cndmask_b32_e32 v2, v2, v3, vcc_lo
	v_cmp_o_f32_e32 vcc_lo, v39, v38
	s_delay_alu instid0(VALU_DEP_2) | instskip(SKIP_1) | instid1(VALU_DEP_1)
	v_cndmask_b32_e32 v12, 0x7fc00000, v2, vcc_lo
	v_lshrrev_b32_e32 v2, 23, v14
	v_add_nc_u32_e32 v2, 0xffffff88, v2
	s_delay_alu instid0(VALU_DEP_1) | instskip(SKIP_1) | instid1(VALU_DEP_1)
	v_cmp_lt_u32_e32 vcc_lo, 63, v2
	v_cndmask_b32_e64 v3, 0, 0xffffffc0, vcc_lo
	v_add_nc_u32_e32 v2, v3, v2
	s_delay_alu instid0(VALU_DEP_1) | instskip(NEXT) | instid1(VALU_DEP_1)
	v_cmp_lt_u32_e64 s6, 31, v2
	v_cndmask_b32_e64 v3, 0, 0xffffffe0, s6
	s_delay_alu instid0(VALU_DEP_1) | instskip(NEXT) | instid1(VALU_DEP_1)
	v_add_nc_u32_e32 v2, v3, v2
	v_cmp_lt_u32_e64 s7, 31, v2
	s_delay_alu instid0(VALU_DEP_1) | instskip(NEXT) | instid1(VALU_DEP_1)
	v_cndmask_b32_e64 v3, 0, 0xffffffe0, s7
	v_dual_add_nc_u32 v6, v3, v2 :: v_dual_mov_b32 v2, v45
	v_mov_b32_e32 v3, v29
	s_delay_alu instid0(VALU_DEP_1) | instskip(NEXT) | instid1(VALU_DEP_1)
	v_mad_nc_u64_u32 v[46:47], 0x3c439041, v28, v[2:3]
	v_mov_b32_e32 v2, v47
	s_delay_alu instid0(VALU_DEP_1) | instskip(NEXT) | instid1(VALU_DEP_1)
	v_mad_nc_u64_u32 v[48:49], 0xdb629599, v28, v[2:3]
	v_mov_b32_e32 v2, v49
	v_cmp_eq_u32_e64 s8, 0, v6
	v_dual_mov_b32 v49, v29 :: v_dual_sub_nc_u32 v6, 32, v6
	s_delay_alu instid0(VALU_DEP_3) | instskip(NEXT) | instid1(VALU_DEP_1)
	v_mad_nc_u64_u32 v[2:3], 0xf534ddc0, v28, v[2:3]
	v_mov_b32_e32 v32, v3
	s_delay_alu instid0(VALU_DEP_1) | instskip(NEXT) | instid1(VALU_DEP_1)
	v_mad_nc_u64_u32 v[32:33], 0xfc2757d1, v28, v[32:33]
	v_mov_b32_e32 v34, v33
	s_delay_alu instid0(VALU_DEP_1) | instskip(NEXT) | instid1(VALU_DEP_1)
	v_mad_nc_u64_u32 v[34:35], 0x4e441529, v28, v[34:35]
	v_dual_mov_b32 v50, v35 :: v_dual_cndmask_b32 v3, v34, v2
	s_delay_alu instid0(VALU_DEP_1) | instskip(NEXT) | instid1(VALU_DEP_1)
	v_mad_nc_u64_u32 v[50:51], 0xa2f9836e, v28, v[50:51]
	v_cndmask_b32_e32 v4, v50, v32, vcc_lo
	s_delay_alu instid0(VALU_DEP_1) | instskip(NEXT) | instid1(VALU_DEP_1)
	v_dual_cndmask_b32 v5, v4, v3, s6 :: v_dual_cndmask_b32 v7, v51, v34, vcc_lo
	v_dual_mov_b32 v51, v29 :: v_dual_cndmask_b32 v4, v7, v4, s6
	v_cndmask_b32_e32 v7, v32, v48, vcc_lo
	s_delay_alu instid0(VALU_DEP_1) | instskip(NEXT) | instid1(VALU_DEP_1)
	v_dual_cndmask_b32 v4, v4, v5, s7 :: v_dual_cndmask_b32 v3, v3, v7, s6
	v_cndmask_b32_e64 v5, v5, v3, s7
	s_delay_alu instid0(VALU_DEP_1) | instskip(NEXT) | instid1(VALU_DEP_1)
	v_alignbit_b32 v10, v4, v5, v6
	v_cndmask_b32_e64 v4, v10, v4, s8
	v_cndmask_b32_e32 v2, v2, v46, vcc_lo
	s_delay_alu instid0(VALU_DEP_2) | instskip(NEXT) | instid1(VALU_DEP_2)
	v_bfe_u32 v27, v4, 29, 1
	v_dual_cndmask_b32 v7, v7, v2, s6 :: v_dual_lshrrev_b32 v16, 29, v4
	s_delay_alu instid0(VALU_DEP_2) | instskip(NEXT) | instid1(VALU_DEP_2)
	v_sub_nc_u32_e32 v28, 0, v27
	v_dual_cndmask_b32 v3, v3, v7, s7 :: v_dual_cndmask_b32 v32, v48, v44, vcc_lo
	s_delay_alu instid0(VALU_DEP_1) | instskip(NEXT) | instid1(VALU_DEP_2)
	v_alignbit_b32 v10, v5, v3, v6
	v_cndmask_b32_e64 v2, v2, v32, s6
	v_cmp_class_f32_e64 s6, v38, 0x1f8
	s_delay_alu instid0(VALU_DEP_2) | instskip(SKIP_1) | instid1(VALU_DEP_2)
	v_dual_cndmask_b32 v5, v10, v5, s8 :: v_dual_cndmask_b32 v2, v7, v2, s7
	v_cmp_class_f32_e64 s7, v39, 0x1f8
	v_alignbit_b32 v10, v4, v5, 30
	s_delay_alu instid0(VALU_DEP_3) | instskip(NEXT) | instid1(VALU_DEP_2)
	v_alignbit_b32 v6, v3, v2, v6
	v_xor_b32_e32 v10, v10, v28
	s_delay_alu instid0(VALU_DEP_2) | instskip(NEXT) | instid1(VALU_DEP_2)
	v_cndmask_b32_e64 v3, v6, v3, s8
	v_clz_i32_u32_e32 v6, v10
	s_delay_alu instid0(VALU_DEP_2) | instskip(SKIP_1) | instid1(VALU_DEP_3)
	v_alignbit_b32 v5, v5, v3, 30
	v_alignbit_b32 v2, v3, v2, 30
	v_min_u32_e32 v6, 32, v6
	s_delay_alu instid0(VALU_DEP_3) | instskip(NEXT) | instid1(VALU_DEP_2)
	v_xor_b32_e32 v5, v5, v28
	v_dual_sub_nc_u32 v7, 31, v6 :: v_dual_bitop2_b32 v2, v2, v28 bitop3:0x14
	s_delay_alu instid0(VALU_DEP_1) | instskip(NEXT) | instid1(VALU_DEP_2)
	v_alignbit_b32 v10, v10, v5, v7
	v_alignbit_b32 v2, v5, v2, v7
	s_delay_alu instid0(VALU_DEP_1) | instskip(NEXT) | instid1(VALU_DEP_1)
	v_alignbit_b32 v3, v10, v2, 9
	v_clz_i32_u32_e32 v5, v3
	s_delay_alu instid0(VALU_DEP_1) | instskip(NEXT) | instid1(VALU_DEP_1)
	v_min_u32_e32 v5, 32, v5
	v_not_b32_e32 v7, v5
	v_add_lshl_u32 v5, v5, v6, 23
	s_delay_alu instid0(VALU_DEP_2)
	v_alignbit_b32 v2, v3, v2, v7
	v_lshlrev_b32_e32 v3, 31, v16
	v_and_b32_e32 v58, 0x7fffffff, v12
	v_bfi_b32 v77, 0x7fffffff, v12, v38
	v_cmp_gt_f32_e64 s8, 0x48000000, |v12|
	v_lshrrev_b32_e32 v2, 9, v2
	v_or_b32_e32 v7, 0x33000000, v3
	v_or_b32_e32 v3, 0.5, v3
	v_and_or_b32 v28, v58, s49, 0x800000
	v_sub_f32_e32 v64, v77, v40
	v_cmp_class_f32_e64 s25, v12, 0x1f8
	v_sub_nc_u32_e32 v5, v7, v5
	v_mul_f32_e32 v85, v40, v77
	s_delay_alu instid0(VALU_DEP_4) | instskip(SKIP_1) | instid1(VALU_DEP_4)
	v_and_b32_e32 v65, 0x7fffffff, v64
	v_cmp_gt_f32_e64 s23, 0x48000000, |v64|
	v_or_b32_e32 v2, v5, v2
	v_lshrrev_b32_e32 v5, 9, v10
	v_lshlrev_b32_e32 v6, 23, v6
	v_and_b32_e32 v86, 0x7fffffff, v85
	s_delay_alu instid0(VALU_DEP_2) | instskip(NEXT) | instid1(VALU_DEP_1)
	v_sub_nc_u32_e32 v3, v3, v6
	v_or_b32_e32 v3, v5, v3
	s_delay_alu instid0(VALU_DEP_1) | instskip(NEXT) | instid1(VALU_DEP_1)
	v_mul_f32_e32 v5, 0x3fc90fda, v3
	v_fma_f32 v6, 0x3fc90fda, v3, -v5
	s_delay_alu instid0(VALU_DEP_1) | instskip(SKIP_1) | instid1(VALU_DEP_2)
	v_fmac_f32_e32 v6, 0x33a22168, v3
	v_mul_f32_e64 v3, 0x3f22f983, |v39|
	v_fmac_f32_e32 v6, 0x3fc90fda, v2
	s_delay_alu instid0(VALU_DEP_2) | instskip(NEXT) | instid1(VALU_DEP_2)
	v_rndne_f32_e32 v3, v3
	v_add_f32_e32 v33, v5, v6
	s_delay_alu instid0(VALU_DEP_2) | instskip(NEXT) | instid1(VALU_DEP_1)
	v_fma_f32 v35, 0xbfc90fda, v3, |v39|
	v_dual_fmac_f32 v35, 0xb3a22168, v3 :: v_dual_lshrrev_b32 v2, 30, v4
	s_delay_alu instid0(VALU_DEP_1) | instskip(SKIP_2) | instid1(VALU_DEP_4)
	v_dual_add_nc_u32 v34, v27, v2 :: v_dual_add_nc_u32 v32, v16, v2
	v_sub_f32_e32 v2, v42, v43
	v_cvt_i32_f32_e32 v27, v3
	v_fmac_f32_e32 v35, 0xa7c234c4, v3
	v_mov_b32_e32 v43, v29
	s_delay_alu instid0(VALU_DEP_4) | instskip(NEXT) | instid1(VALU_DEP_1)
	v_div_scale_f32 v3, null, v2, v2, 1.0
	v_rcp_f32_e32 v4, v3
	v_nop
	s_delay_alu instid0(TRANS32_DEP_1) | instskip(NEXT) | instid1(VALU_DEP_1)
	v_fma_f32 v5, -v3, v4, 1.0
	v_fmac_f32_e32 v4, v5, v4
	v_div_scale_f32 v5, vcc_lo, 1.0, v2, 1.0
	s_delay_alu instid0(VALU_DEP_1) | instskip(NEXT) | instid1(VALU_DEP_1)
	v_mul_f32_e32 v6, v5, v4
	v_fma_f32 v7, -v3, v6, v5
	s_delay_alu instid0(VALU_DEP_1) | instskip(NEXT) | instid1(VALU_DEP_1)
	v_fmac_f32_e32 v6, v7, v4
	v_fma_f32 v3, -v3, v6, v5
	s_delay_alu instid0(VALU_DEP_1) | instskip(NEXT) | instid1(VALU_DEP_1)
	v_div_fmas_f32 v3, v3, v4, v6
	v_div_fixup_f32 v2, v3, v2, 1.0
	s_delay_alu instid0(VALU_DEP_1) | instskip(NEXT) | instid1(VALU_DEP_1)
	v_and_b32_e32 v2, 0x7fffffff, v2
	v_pk_mul_f32 v[2:3], v[38:39], v[2:3] op_sel_hi:[1,0]
	scratch_store_b64 off, v[2:3], off offset:20 ; 8-byte Folded Spill
	s_wait_xcnt 0x0
	v_fma_f32 v2, v40, v40, 4.0
	s_delay_alu instid0(VALU_DEP_1) | instskip(NEXT) | instid1(VALU_DEP_1)
	v_div_scale_f32 v3, null, v2, v2, 4.0
	v_rcp_f32_e32 v4, v3
	v_nop
	s_delay_alu instid0(TRANS32_DEP_1) | instskip(NEXT) | instid1(VALU_DEP_1)
	v_fma_f32 v5, -v3, v4, 1.0
	v_fmac_f32_e32 v4, v5, v4
	v_div_scale_f32 v5, vcc_lo, 4.0, v2, 4.0
	s_delay_alu instid0(VALU_DEP_1) | instskip(NEXT) | instid1(VALU_DEP_1)
	v_mul_f32_e32 v6, v5, v4
	v_fma_f32 v7, -v3, v6, v5
	s_delay_alu instid0(VALU_DEP_1) | instskip(NEXT) | instid1(VALU_DEP_1)
	v_fmac_f32_e32 v6, v7, v4
	v_fma_f32 v3, -v3, v6, v5
	s_delay_alu instid0(VALU_DEP_1) | instskip(NEXT) | instid1(VALU_DEP_1)
	v_div_fmas_f32 v3, v3, v4, v6
	v_div_fixup_f32 v2, v3, v2, 4.0
	s_delay_alu instid0(VALU_DEP_1) | instskip(SKIP_1) | instid1(VALU_DEP_1)
	v_pk_mul_f32 v[44:45], v[38:39], v[2:3] op_sel_hi:[1,0]
	v_add_f32_e32 v2, 1.0, v40
	v_div_scale_f32 v3, null, v2, v2, 2.0
	s_delay_alu instid0(VALU_DEP_1) | instskip(SKIP_1) | instid1(TRANS32_DEP_1)
	v_rcp_f32_e32 v4, v3
	v_nop
	v_fma_f32 v5, -v3, v4, 1.0
	s_delay_alu instid0(VALU_DEP_1) | instskip(SKIP_1) | instid1(VALU_DEP_1)
	v_fmac_f32_e32 v4, v5, v4
	v_div_scale_f32 v5, vcc_lo, 2.0, v2, 2.0
	v_mul_f32_e32 v6, v5, v4
	s_delay_alu instid0(VALU_DEP_1) | instskip(NEXT) | instid1(VALU_DEP_1)
	v_fma_f32 v7, -v3, v6, v5
	v_dual_fmac_f32 v6, v7, v4 :: v_dual_mov_b32 v7, v29
	s_delay_alu instid0(VALU_DEP_1) | instskip(NEXT) | instid1(VALU_DEP_1)
	v_fma_f32 v3, -v3, v6, v5
	v_div_fmas_f32 v3, v3, v4, v6
	s_delay_alu instid0(VALU_DEP_1) | instskip(NEXT) | instid1(VALU_DEP_1)
	v_div_fixup_f32 v2, v3, v2, 2.0
	v_pk_mul_f32 v[46:47], v[38:39], v[2:3] op_sel_hi:[1,0]
	v_lshrrev_b32_e32 v2, 23, v58
	s_delay_alu instid0(VALU_DEP_1) | instskip(NEXT) | instid1(VALU_DEP_1)
	v_add_nc_u32_e32 v2, 0xffffff88, v2
	v_cmp_lt_u32_e32 vcc_lo, 63, v2
	v_cndmask_b32_e64 v3, 0, 0xffffffc0, vcc_lo
	s_delay_alu instid0(VALU_DEP_1) | instskip(NEXT) | instid1(VALU_DEP_1)
	v_add_nc_u32_e32 v2, v3, v2
	v_cmp_lt_u32_e64 s9, 31, v2
	s_delay_alu instid0(VALU_DEP_1) | instskip(NEXT) | instid1(VALU_DEP_1)
	v_cndmask_b32_e64 v3, 0, 0xffffffe0, s9
	v_add_nc_u32_e32 v2, v3, v2
	s_delay_alu instid0(VALU_DEP_1) | instskip(NEXT) | instid1(VALU_DEP_1)
	v_cmp_lt_u32_e64 s10, 31, v2
	v_cndmask_b32_e64 v3, 0, 0xffffffe0, s10
	s_delay_alu instid0(VALU_DEP_1) | instskip(SKIP_1) | instid1(VALU_DEP_1)
	v_add_nc_u32_e32 v4, v3, v2
	v_mul_u64_e32 v[2:3], s[34:35], v[28:29]
	v_mov_b32_e32 v6, v3
	s_delay_alu instid0(VALU_DEP_1) | instskip(NEXT) | instid1(VALU_DEP_1)
	v_mad_nc_u64_u32 v[6:7], 0x3c439041, v28, v[6:7]
	v_mov_b32_e32 v42, v7
	s_delay_alu instid0(VALU_DEP_1) | instskip(NEXT) | instid1(VALU_DEP_1)
	v_mad_nc_u64_u32 v[42:43], 0xdb629599, v28, v[42:43]
	v_dual_mov_b32 v48, v43 :: v_dual_cndmask_b32 v2, v42, v2, vcc_lo
	s_delay_alu instid0(VALU_DEP_1) | instskip(NEXT) | instid1(VALU_DEP_1)
	v_mad_nc_u64_u32 v[48:49], 0xf534ddc0, v28, v[48:49]
	v_mov_b32_e32 v50, v49
	v_cmp_eq_u32_e64 s11, 0, v4
	s_delay_alu instid0(VALU_DEP_3) | instskip(SKIP_1) | instid1(VALU_DEP_4)
	v_dual_sub_nc_u32 v4, 32, v4 :: v_dual_cndmask_b32 v6, v48, v6, vcc_lo
	v_mov_b32_e32 v49, v29
	v_mad_nc_u64_u32 v[50:51], 0xfc2757d1, v28, v[50:51]
	s_delay_alu instid0(VALU_DEP_1) | instskip(SKIP_1) | instid1(VALU_DEP_2)
	v_dual_mov_b32 v55, v29 :: v_dual_mov_b32 v52, v51
	v_mov_b32_e32 v51, v29
	v_mad_nc_u64_u32 v[52:53], 0x4e441529, v28, v[52:53]
	s_delay_alu instid0(VALU_DEP_1) | instskip(SKIP_1) | instid1(VALU_DEP_2)
	v_dual_cndmask_b32 v3, v52, v48 :: v_dual_mov_b32 v54, v53
	v_mov_b32_e32 v53, v29
	v_mad_nc_u64_u32 v[54:55], 0xa2f9836e, v28, v[54:55]
	s_delay_alu instid0(VALU_DEP_1) | instskip(NEXT) | instid1(VALU_DEP_1)
	v_dual_cndmask_b32 v5, v54, v50 :: v_dual_cndmask_b32 v10, v55, v52
	v_dual_cndmask_b32 v7, v5, v3, s9 :: v_dual_cndmask_b32 v5, v10, v5, s9
	v_cndmask_b32_e32 v10, v50, v42, vcc_lo
	s_delay_alu instid0(VALU_DEP_1) | instskip(NEXT) | instid1(VALU_DEP_1)
	v_dual_cndmask_b32 v3, v3, v10, s9 :: v_dual_cndmask_b32 v5, v5, v7, s10
	v_dual_cndmask_b32 v7, v7, v3, s10 :: v_dual_cndmask_b32 v10, v10, v6, s9
	s_delay_alu instid0(VALU_DEP_1) | instskip(NEXT) | instid1(VALU_DEP_1)
	v_alignbit_b32 v16, v5, v7, v4
	v_dual_cndmask_b32 v3, v3, v10, s10 :: v_dual_cndmask_b32 v5, v16, v5, s11
	s_delay_alu instid0(VALU_DEP_1) | instskip(NEXT) | instid1(VALU_DEP_2)
	v_alignbit_b32 v16, v7, v3, v4
	v_bfe_u32 v41, v5, 29, 1
	s_delay_alu instid0(VALU_DEP_2) | instskip(NEXT) | instid1(VALU_DEP_2)
	v_dual_cndmask_b32 v7, v16, v7, s11 :: v_dual_lshrrev_b32 v28, 29, v5
	v_dual_cndmask_b32 v2, v6, v2, s9 :: v_dual_sub_nc_u32 v43, 0, v41
	s_delay_alu instid0(VALU_DEP_2) | instskip(NEXT) | instid1(VALU_DEP_1)
	v_alignbit_b32 v16, v5, v7, 30
	v_dual_cndmask_b32 v2, v10, v2, s10 :: v_dual_bitop2_b32 v16, v16, v43 bitop3:0x14
	s_delay_alu instid0(VALU_DEP_1) | instskip(NEXT) | instid1(VALU_DEP_2)
	v_alignbit_b32 v4, v3, v2, v4
	v_clz_i32_u32_e32 v6, v16
	s_delay_alu instid0(VALU_DEP_2) | instskip(NEXT) | instid1(VALU_DEP_2)
	v_cndmask_b32_e64 v3, v4, v3, s11
	v_min_u32_e32 v6, 32, v6
	s_delay_alu instid0(VALU_DEP_2) | instskip(SKIP_1) | instid1(VALU_DEP_2)
	v_alignbit_b32 v4, v7, v3, 30
	v_alignbit_b32 v2, v3, v2, 30
	v_dual_sub_nc_u32 v7, 31, v6 :: v_dual_bitop2_b32 v4, v4, v43 bitop3:0x14
	s_delay_alu instid0(VALU_DEP_2) | instskip(NEXT) | instid1(VALU_DEP_2)
	v_dual_mov_b32 v43, v29 :: v_dual_bitop2_b32 v2, v2, v43 bitop3:0x14
	v_alignbit_b32 v10, v16, v4, v7
	s_delay_alu instid0(VALU_DEP_2) | instskip(NEXT) | instid1(VALU_DEP_1)
	v_alignbit_b32 v2, v4, v2, v7
	v_alignbit_b32 v3, v10, v2, 9
	s_delay_alu instid0(VALU_DEP_1) | instskip(NEXT) | instid1(VALU_DEP_1)
	v_clz_i32_u32_e32 v4, v3
	v_min_u32_e32 v4, 32, v4
	s_delay_alu instid0(VALU_DEP_1) | instskip(SKIP_1) | instid1(VALU_DEP_2)
	v_not_b32_e32 v7, v4
	v_add_lshl_u32 v4, v4, v6, 23
	v_alignbit_b32 v2, v3, v2, v7
	v_lshlrev_b32_e32 v3, 31, v28
	v_and_or_b32 v28, v69, s49, 0x800000
	s_delay_alu instid0(VALU_DEP_2) | instskip(NEXT) | instid1(VALU_DEP_4)
	v_or_b32_e32 v7, 0x33000000, v3
	v_dual_lshrrev_b32 v2, 9, v2 :: v_dual_bitop2_b32 v3, 0.5, v3 bitop3:0x54
	s_delay_alu instid0(VALU_DEP_2) | instskip(NEXT) | instid1(VALU_DEP_1)
	v_dual_mov_b32 v7, v29 :: v_dual_sub_nc_u32 v4, v7, v4
	v_or_b32_e32 v2, v4, v2
	v_lshrrev_b32_e32 v4, 9, v10
	v_lshlrev_b32_e32 v6, 23, v6
	s_delay_alu instid0(VALU_DEP_1) | instskip(NEXT) | instid1(VALU_DEP_1)
	v_sub_nc_u32_e32 v3, v3, v6
	v_or_b32_e32 v3, v4, v3
	s_delay_alu instid0(VALU_DEP_1) | instskip(NEXT) | instid1(VALU_DEP_1)
	v_mul_f32_e32 v4, 0x3fc90fda, v3
	v_fma_f32 v6, 0x3fc90fda, v3, -v4
	s_delay_alu instid0(VALU_DEP_1) | instskip(NEXT) | instid1(VALU_DEP_1)
	v_fmac_f32_e32 v6, 0x33a22168, v3
	v_fmac_f32_e32 v6, 0x3fc90fda, v2
	s_delay_alu instid0(VALU_DEP_1) | instskip(NEXT) | instid1(VALU_DEP_1)
	v_dual_add_f32 v59, v4, v6 :: v_dual_lshrrev_b32 v2, 30, v5
	v_add_nc_u32_e32 v60, v41, v2
	v_mul_f32_e64 v2, 0x3f22f983, |v12|
	s_delay_alu instid0(VALU_DEP_1) | instskip(NEXT) | instid1(VALU_DEP_1)
	v_rndne_f32_e32 v2, v2
	v_fma_f32 v61, 0xbfc90fda, v2, |v12|
	v_cvt_i32_f32_e32 v66, v2
	s_delay_alu instid0(VALU_DEP_2) | instskip(NEXT) | instid1(VALU_DEP_1)
	v_fmac_f32_e32 v61, 0xb3a22168, v2
	v_dual_fmac_f32 v61, 0xa7c234c4, v2 :: v_dual_lshrrev_b32 v2, 23, v69
	s_delay_alu instid0(VALU_DEP_1) | instskip(NEXT) | instid1(VALU_DEP_1)
	v_add_nc_u32_e32 v2, 0xffffff88, v2
	v_cmp_lt_u32_e32 vcc_lo, 63, v2
	v_cndmask_b32_e64 v3, 0, 0xffffffc0, vcc_lo
	s_delay_alu instid0(VALU_DEP_1) | instskip(NEXT) | instid1(VALU_DEP_1)
	v_add_nc_u32_e32 v2, v3, v2
	v_cmp_lt_u32_e64 s9, 31, v2
	s_delay_alu instid0(VALU_DEP_1) | instskip(NEXT) | instid1(VALU_DEP_1)
	v_cndmask_b32_e64 v3, 0, 0xffffffe0, s9
	v_add_nc_u32_e32 v2, v3, v2
	s_delay_alu instid0(VALU_DEP_1) | instskip(NEXT) | instid1(VALU_DEP_1)
	v_cmp_lt_u32_e64 s10, 31, v2
	v_cndmask_b32_e64 v3, 0, 0xffffffe0, s10
	s_delay_alu instid0(VALU_DEP_1) | instskip(SKIP_1) | instid1(VALU_DEP_1)
	v_add_nc_u32_e32 v4, v3, v2
	v_mul_u64_e32 v[2:3], s[34:35], v[28:29]
	v_mov_b32_e32 v6, v3
	s_delay_alu instid0(VALU_DEP_1) | instskip(NEXT) | instid1(VALU_DEP_1)
	v_mad_nc_u64_u32 v[6:7], 0x3c439041, v28, v[6:7]
	v_mov_b32_e32 v42, v7
	s_delay_alu instid0(VALU_DEP_1) | instskip(NEXT) | instid1(VALU_DEP_1)
	v_mad_nc_u64_u32 v[42:43], 0xdb629599, v28, v[42:43]
	v_dual_mov_b32 v48, v43 :: v_dual_cndmask_b32 v2, v42, v2, vcc_lo
	s_delay_alu instid0(VALU_DEP_1) | instskip(NEXT) | instid1(VALU_DEP_1)
	v_mad_nc_u64_u32 v[48:49], 0xf534ddc0, v28, v[48:49]
	v_dual_mov_b32 v50, v49 :: v_dual_cndmask_b32 v6, v48, v6, vcc_lo
	s_delay_alu instid0(VALU_DEP_1) | instskip(NEXT) | instid1(VALU_DEP_1)
	v_mad_nc_u64_u32 v[50:51], 0xfc2757d1, v28, v[50:51]
	v_dual_mov_b32 v55, v29 :: v_dual_mov_b32 v52, v51
	s_delay_alu instid0(VALU_DEP_1) | instskip(NEXT) | instid1(VALU_DEP_1)
	v_mad_nc_u64_u32 v[52:53], 0x4e441529, v28, v[52:53]
	v_dual_mov_b32 v54, v53 :: v_dual_cndmask_b32 v3, v52, v48
	v_cmp_eq_u32_e64 s11, 0, v4
	v_sub_nc_u32_e32 v4, 32, v4
	v_mov_b64_e32 v[48:49], s[44:45]
	s_delay_alu instid0(VALU_DEP_4) | instskip(NEXT) | instid1(VALU_DEP_1)
	v_mad_nc_u64_u32 v[54:55], 0xa2f9836e, v28, v[54:55]
	v_dual_mov_b32 v53, v29 :: v_dual_cndmask_b32 v5, v54, v50, vcc_lo
	s_delay_alu instid0(VALU_DEP_2) | instskip(NEXT) | instid1(VALU_DEP_1)
	v_dual_cndmask_b32 v10, v55, v52 :: v_dual_mov_b32 v55, v29
	v_dual_cndmask_b32 v7, v5, v3, s9 :: v_dual_cndmask_b32 v5, v10, v5, s9
	v_cndmask_b32_e32 v10, v50, v42, vcc_lo
	s_delay_alu instid0(VALU_DEP_1) | instskip(NEXT) | instid1(VALU_DEP_1)
	v_dual_cndmask_b32 v3, v3, v10, s9 :: v_dual_cndmask_b32 v5, v5, v7, s10
	v_dual_cndmask_b32 v7, v7, v3, s10 :: v_dual_cndmask_b32 v10, v10, v6, s9
	s_delay_alu instid0(VALU_DEP_1) | instskip(NEXT) | instid1(VALU_DEP_1)
	v_alignbit_b32 v16, v5, v7, v4
	v_dual_cndmask_b32 v3, v3, v10, s10 :: v_dual_cndmask_b32 v5, v16, v5, s11
	s_delay_alu instid0(VALU_DEP_1) | instskip(NEXT) | instid1(VALU_DEP_2)
	v_alignbit_b32 v16, v7, v3, v4
	v_bfe_u32 v41, v5, 29, 1
	s_delay_alu instid0(VALU_DEP_2) | instskip(SKIP_2) | instid1(VALU_DEP_4)
	v_dual_cndmask_b32 v7, v16, v7, s11 :: v_dual_lshrrev_b32 v28, 29, v5
	v_cndmask_b32_e64 v2, v6, v2, s9
	v_cmp_lt_f32_e64 s9, 0x42b2d4fc, |v39|
	v_sub_nc_u32_e32 v43, 0, v41
	s_delay_alu instid0(VALU_DEP_4) | instskip(NEXT) | instid1(VALU_DEP_1)
	v_alignbit_b32 v16, v5, v7, 30
	v_dual_cndmask_b32 v2, v10, v2, s10 :: v_dual_bitop2_b32 v16, v16, v43 bitop3:0x14
	s_delay_alu instid0(VALU_DEP_1) | instskip(NEXT) | instid1(VALU_DEP_2)
	v_alignbit_b32 v4, v3, v2, v4
	v_clz_i32_u32_e32 v6, v16
	s_delay_alu instid0(VALU_DEP_2) | instskip(NEXT) | instid1(VALU_DEP_2)
	v_cndmask_b32_e64 v3, v4, v3, s11
	v_min_u32_e32 v6, 32, v6
	s_delay_alu instid0(VALU_DEP_2) | instskip(SKIP_1) | instid1(VALU_DEP_2)
	v_alignbit_b32 v4, v7, v3, 30
	v_alignbit_b32 v2, v3, v2, 30
	v_dual_sub_nc_u32 v7, 31, v6 :: v_dual_bitop2_b32 v4, v4, v43 bitop3:0x14
	s_delay_alu instid0(VALU_DEP_2) | instskip(NEXT) | instid1(VALU_DEP_2)
	v_xor_b32_e32 v2, v2, v43
	v_alignbit_b32 v10, v16, v4, v7
	s_delay_alu instid0(VALU_DEP_2) | instskip(NEXT) | instid1(VALU_DEP_1)
	v_alignbit_b32 v2, v4, v2, v7
	v_alignbit_b32 v3, v10, v2, 9
	s_delay_alu instid0(VALU_DEP_1) | instskip(NEXT) | instid1(VALU_DEP_1)
	v_clz_i32_u32_e32 v4, v3
	v_min_u32_e32 v4, 32, v4
	s_delay_alu instid0(VALU_DEP_1) | instskip(SKIP_1) | instid1(VALU_DEP_2)
	v_not_b32_e32 v7, v4
	v_add_lshl_u32 v4, v4, v6, 23
	v_alignbit_b32 v2, v3, v2, v7
	v_lshlrev_b32_e32 v3, 31, v28
	v_and_or_b32 v28, v92, s49, 0x800000
	s_delay_alu instid0(VALU_DEP_2) | instskip(NEXT) | instid1(VALU_DEP_4)
	v_or_b32_e32 v7, 0x33000000, v3
	v_dual_lshrrev_b32 v2, 9, v2 :: v_dual_bitop2_b32 v3, 0.5, v3 bitop3:0x54
	s_delay_alu instid0(VALU_DEP_2) | instskip(NEXT) | instid1(VALU_DEP_1)
	v_sub_nc_u32_e32 v4, v7, v4
	v_or_b32_e32 v2, v4, v2
	v_lshrrev_b32_e32 v4, 9, v10
	v_lshlrev_b32_e32 v6, 23, v6
	s_delay_alu instid0(VALU_DEP_1) | instskip(NEXT) | instid1(VALU_DEP_1)
	v_sub_nc_u32_e32 v3, v3, v6
	v_or_b32_e32 v3, v4, v3
	s_delay_alu instid0(VALU_DEP_1) | instskip(NEXT) | instid1(VALU_DEP_1)
	v_mul_f32_e32 v4, 0x3fc90fda, v3
	v_fma_f32 v6, 0x3fc90fda, v3, -v4
	s_delay_alu instid0(VALU_DEP_1) | instskip(NEXT) | instid1(VALU_DEP_1)
	v_fmac_f32_e32 v6, 0x33a22168, v3
	v_fmac_f32_e32 v6, 0x3fc90fda, v2
	s_delay_alu instid0(VALU_DEP_1) | instskip(SKIP_1) | instid1(VALU_DEP_1)
	v_dual_add_f32 v73, v4, v6 :: v_dual_lshrrev_b32 v2, 30, v5
	v_add_f32_e64 v4, 0xbf317218, |v39|
	v_sub_f32_e64 v3, v4, |v39|
	s_delay_alu instid0(VALU_DEP_3) | instskip(SKIP_1) | instid1(VALU_DEP_1)
	v_add_nc_u32_e32 v72, v41, v2
	v_mul_f32_e64 v2, 0x3f22f983, |v67|
	v_rndne_f32_e32 v2, v2
	s_delay_alu instid0(VALU_DEP_1) | instskip(SKIP_1) | instid1(VALU_DEP_2)
	v_fma_f32 v76, 0xbfc90fda, v2, |v67|
	v_cvt_i32_f32_e32 v80, v2
	v_fmac_f32_e32 v76, 0xb3a22168, v2
	s_delay_alu instid0(VALU_DEP_1) | instskip(SKIP_1) | instid1(VALU_DEP_1)
	v_fmac_f32_e32 v76, 0xa7c234c4, v2
	v_sub_f32_e32 v2, v3, v4
	v_pk_add_f32 v[2:3], v[14:15], v[2:3]
	s_delay_alu instid0(VALU_DEP_1) | instskip(NEXT) | instid1(VALU_DEP_1)
	v_sub_f32_e32 v2, v2, v3
	v_add_f32_e32 v2, 0x3102e308, v2
	s_delay_alu instid0(VALU_DEP_1) | instskip(NEXT) | instid1(VALU_DEP_1)
	v_add_f32_e32 v3, v4, v2
	v_sub_f32_e32 v4, v4, v3
	s_delay_alu instid0(VALU_DEP_1) | instskip(SKIP_1) | instid1(VALU_DEP_1)
	v_add_f32_e32 v2, v2, v4
	v_mul_f32_e32 v4, 0x3fb8aa3b, v3
	v_rndne_f32_e32 v4, v4
	s_delay_alu instid0(VALU_DEP_1) | instskip(SKIP_1) | instid1(VALU_DEP_2)
	v_fmac_f32_e32 v3, 0xbf317200, v4
	v_mul_f32_e32 v7, 0x35bfbc00, v4
	v_add_f32_e32 v5, v2, v3
	s_delay_alu instid0(VALU_DEP_1) | instskip(NEXT) | instid1(VALU_DEP_1)
	v_dual_sub_f32 v6, v5, v7 :: v_dual_sub_f32 v3, v3, v5
	v_dual_sub_f32 v5, v5, v6 :: v_dual_add_f32 v2, v2, v3
	v_mul_f32_e32 v3, 0x2ea39ef3, v4
	v_cvt_i32_f32_e32 v4, v4
	s_delay_alu instid0(VALU_DEP_3) | instskip(NEXT) | instid1(VALU_DEP_1)
	v_sub_f32_e32 v5, v5, v7
	v_add_f32_e32 v5, v2, v5
	s_delay_alu instid0(VALU_DEP_1) | instskip(NEXT) | instid1(VALU_DEP_1)
	v_add_f32_e32 v7, v6, v5
	v_mov_b32_e32 v2, v7
	s_delay_alu instid0(VALU_DEP_1) | instskip(NEXT) | instid1(VALU_DEP_1)
	v_pk_add_f32 v[42:43], v[6:7], v[2:3] neg_lo:[0,1] neg_hi:[0,1]
	v_sub_f32_e32 v2, v7, v43
	s_delay_alu instid0(VALU_DEP_1) | instskip(NEXT) | instid1(VALU_DEP_1)
	v_dual_sub_f32 v2, v2, v3 :: v_dual_add_f32 v3, v5, v42
	v_add_f32_e32 v2, v3, v2
	s_delay_alu instid0(VALU_DEP_1) | instskip(NEXT) | instid1(VALU_DEP_1)
	v_add_f32_e32 v3, v43, v2
	v_dual_fmaak_f32 v5, s51, v3, 0x3c091de6 :: v_dual_sub_f32 v6, v43, v3
	s_delay_alu instid0(VALU_DEP_1) | instskip(NEXT) | instid1(VALU_DEP_1)
	v_dual_fmaak_f32 v5, v3, v5, 0x3d2aadcc :: v_dual_add_f32 v2, v2, v6
	v_dual_add_f32 v6, v2, v2 :: v_dual_mul_f32 v7, v3, v3
	s_delay_alu instid0(VALU_DEP_1) | instskip(NEXT) | instid1(VALU_DEP_1)
	v_fma_f32 v10, v3, v3, -v7
	v_dual_fmaak_f32 v5, v3, v5, 0x3e2aaa47 :: v_dual_fmac_f32 v10, v3, v6
	s_delay_alu instid0(VALU_DEP_1) | instskip(NEXT) | instid1(VALU_DEP_2)
	v_fmaak_f32 v5, v3, v5, 0x3efffffc
	v_add_f32_e32 v6, v7, v10
	s_delay_alu instid0(VALU_DEP_1) | instskip(NEXT) | instid1(VALU_DEP_1)
	v_sub_f32_e32 v7, v6, v7
	v_dual_sub_f32 v7, v10, v7 :: v_dual_mul_f32 v10, v5, v6
	s_delay_alu instid0(VALU_DEP_1) | instskip(NEXT) | instid1(VALU_DEP_1)
	v_fma_f32 v6, v6, v5, -v10
	v_fmac_f32_e32 v6, v7, v5
	s_delay_alu instid0(VALU_DEP_1) | instskip(NEXT) | instid1(VALU_DEP_1)
	v_add_f32_e32 v5, v10, v6
	v_dual_add_f32 v16, v3, v5 :: v_dual_sub_f32 v7, v5, v10
	s_delay_alu instid0(VALU_DEP_1) | instskip(NEXT) | instid1(VALU_DEP_1)
	v_sub_f32_e32 v3, v16, v3
	v_sub_f32_e32 v3, v5, v3
	s_delay_alu instid0(VALU_DEP_3) | instskip(NEXT) | instid1(VALU_DEP_1)
	v_sub_f32_e32 v6, v6, v7
	v_add_f32_e32 v2, v2, v6
	s_delay_alu instid0(VALU_DEP_1) | instskip(NEXT) | instid1(VALU_DEP_1)
	v_add_f32_e32 v2, v2, v3
	v_add_f32_e32 v6, v16, v2
	s_delay_alu instid0(VALU_DEP_1) | instskip(NEXT) | instid1(VALU_DEP_1)
	v_dual_add_f32 v7, 1.0, v6 :: v_dual_mov_b32 v3, v6
	v_pk_add_f32 v[48:49], v[6:7], v[48:49]
	v_pk_add_f32 v[42:43], v[6:7], v[16:17] neg_lo:[0,1] neg_hi:[0,1]
	s_delay_alu instid0(VALU_DEP_2) | instskip(NEXT) | instid1(VALU_DEP_1)
	v_mov_b32_e32 v43, v49
	v_pk_add_f32 v[2:3], v[2:3], v[42:43] neg_lo:[0,1] neg_hi:[0,1]
	s_delay_alu instid0(VALU_DEP_1) | instskip(NEXT) | instid1(VALU_DEP_1)
	v_add_f32_e32 v2, v2, v3
	v_add_f32_e32 v3, v7, v2
	s_delay_alu instid0(VALU_DEP_1) | instskip(NEXT) | instid1(VALU_DEP_1)
	v_sub_f32_e32 v5, v3, v7
	v_sub_f32_e32 v5, v2, v5
	v_ldexp_f32 v2, v3, v4
	s_delay_alu instid0(VALU_DEP_2) | instskip(NEXT) | instid1(VALU_DEP_2)
	v_ldexp_f32 v3, v5, v4
	v_rcp_f32_e32 v4, v2
	v_nop
	s_delay_alu instid0(TRANS32_DEP_1) | instskip(NEXT) | instid1(VALU_DEP_1)
	v_mul_f32_e32 v6, v2, v4
	v_fma_f32 v42, v4, v2, -v6
	s_delay_alu instid0(VALU_DEP_1) | instskip(NEXT) | instid1(VALU_DEP_1)
	v_fmac_f32_e32 v42, v4, v3
	v_add_f32_e32 v10, v6, v42
	s_delay_alu instid0(VALU_DEP_1) | instskip(NEXT) | instid1(VALU_DEP_1)
	v_dual_sub_f32 v7, 1.0, v10 :: v_dual_mov_b32 v43, v10
	v_pk_add_f32 v[48:49], v[10:11], v[6:7] neg_lo:[0,1] neg_hi:[0,1]
	s_delay_alu instid0(VALU_DEP_1) | instskip(NEXT) | instid1(VALU_DEP_1)
	v_pk_add_f32 v[42:43], v[48:49], v[42:43] neg_lo:[0,1] neg_hi:[0,1]
	v_add_f32_e32 v5, v42, v43
	s_delay_alu instid0(VALU_DEP_1) | instskip(NEXT) | instid1(VALU_DEP_1)
	v_add_f32_e32 v43, v7, v5
	v_dual_mul_f32 v10, v4, v43 :: v_dual_sub_f32 v7, v7, v43
	s_delay_alu instid0(VALU_DEP_1) | instskip(NEXT) | instid1(VALU_DEP_1)
	v_mul_f32_e32 v6, v2, v10
	v_fma_f32 v48, v10, v2, -v6
	s_delay_alu instid0(VALU_DEP_1) | instskip(NEXT) | instid1(VALU_DEP_1)
	v_fmac_f32_e32 v48, v10, v3
	v_dual_add_f32 v5, v5, v7 :: v_dual_add_f32 v42, v6, v48
	s_delay_alu instid0(VALU_DEP_1) | instskip(NEXT) | instid1(VALU_DEP_1)
	v_dual_sub_f32 v7, v43, v42 :: v_dual_mov_b32 v49, v42
	v_pk_add_f32 v[50:51], v[42:43], v[6:7] neg_lo:[0,1] neg_hi:[0,1]
	v_add_f32_e32 v6, v4, v10
	s_delay_alu instid0(VALU_DEP_2) | instskip(SKIP_2) | instid1(VALU_DEP_3)
	v_pk_add_f32 v[42:43], v[50:51], v[48:49] neg_lo:[0,1] neg_hi:[0,1]
	v_mul_u64_e32 v[48:49], s[34:35], v[28:29]
	v_mov_b32_e32 v51, v29
	v_add_f32_e32 v5, v5, v43
	s_delay_alu instid0(VALU_DEP_1) | instskip(NEXT) | instid1(VALU_DEP_1)
	v_add_f32_e32 v5, v42, v5
	v_add_f32_e32 v5, v7, v5
	s_delay_alu instid0(VALU_DEP_1) | instskip(NEXT) | instid1(VALU_DEP_1)
	v_dual_mul_f32 v5, v4, v5 :: v_dual_sub_f32 v4, v6, v4
	v_sub_f32_e32 v4, v10, v4
	s_delay_alu instid0(VALU_DEP_1) | instskip(NEXT) | instid1(VALU_DEP_1)
	v_add_f32_e32 v4, v4, v5
	v_add_f32_e32 v5, v6, v4
	s_delay_alu instid0(VALU_DEP_1) | instskip(NEXT) | instid1(VALU_DEP_1)
	v_sub_f32_e32 v6, v5, v6
	v_sub_f32_e32 v4, v4, v6
	v_ldexp_f32 v6, v5, -2
	s_delay_alu instid0(VALU_DEP_2) | instskip(NEXT) | instid1(VALU_DEP_1)
	v_ldexp_f32 v7, v4, -2
	v_pk_add_f32 v[42:43], v[2:3], v[6:7]
	s_delay_alu instid0(VALU_DEP_1) | instskip(NEXT) | instid1(VALU_DEP_1)
	v_sub_f32_e32 v4, v42, v2
	v_sub_f32_e32 v4, v6, v4
	s_delay_alu instid0(VALU_DEP_1) | instskip(NEXT) | instid1(VALU_DEP_1)
	v_dual_add_f32 v4, v43, v4 :: v_dual_mov_b32 v43, v29
	v_add_f32_e32 v4, v42, v4
	s_delay_alu instid0(VALU_DEP_1) | instskip(SKIP_1) | instid1(VALU_DEP_1)
	v_cndmask_b32_e64 v56, v4, 0x7f800000, s9
	v_sub_f32_e32 v4, v2, v6
	v_sub_f32_e32 v2, v2, v4
	s_delay_alu instid0(VALU_DEP_1) | instskip(NEXT) | instid1(VALU_DEP_1)
	v_sub_f32_e32 v2, v2, v6
	v_add_f32_e32 v2, v3, v2
	s_delay_alu instid0(VALU_DEP_1) | instskip(NEXT) | instid1(VALU_DEP_1)
	v_dual_sub_f32 v2, v2, v7 :: v_dual_mov_b32 v7, v29
	v_add_f32_e32 v2, v4, v2
	s_delay_alu instid0(VALU_DEP_1) | instskip(SKIP_1) | instid1(VALU_DEP_1)
	v_cndmask_b32_e64 v2, v2, 0x7f800000, s9
	v_cmp_gt_f32_e64 s9, 0x39800000, |v39|
	v_cndmask_b32_e64 v2, v2, |v39|, s9
	s_delay_alu instid0(VALU_DEP_1) | instskip(SKIP_1) | instid1(VALU_DEP_1)
	v_bfi_b32 v57, 0x7fffffff, v2, v39
	v_add_f32_e32 v2, -1.0, v38
	v_mul_f32_e32 v3, 0x3fb8aa3b, v2
	v_cmp_ngt_f32_e32 vcc_lo, 0xc2ce8ed0, v2
	s_delay_alu instid0(VALU_DEP_2) | instskip(SKIP_1) | instid1(VALU_DEP_1)
	v_fma_f32 v4, 0x3fb8aa3b, v2, -v3
	v_rndne_f32_e32 v5, v3
	v_dual_fmac_f32 v4, 0x32a5705f, v2 :: v_dual_sub_f32 v3, v3, v5
	s_delay_alu instid0(VALU_DEP_1) | instskip(SKIP_1) | instid1(VALU_DEP_2)
	v_add_f32_e32 v3, v3, v4
	v_cvt_i32_f32_e32 v4, v5
	v_exp_f32_e32 v3, v3
	v_nop
	s_delay_alu instid0(TRANS32_DEP_1) | instskip(NEXT) | instid1(VALU_DEP_1)
	v_ldexp_f32 v3, v3, v4
	v_cndmask_b32_e32 v3, 0, v3, vcc_lo
	v_cmp_nlt_f32_e32 vcc_lo, 0x42b17218, v2
	v_lshrrev_b32_e32 v2, 23, v92
	v_cmp_gt_f32_e64 s19, 0x48000000, |v91|
	v_cmp_class_f32_e64 s21, v91, 0x1f8
	v_cndmask_b32_e32 v16, 0x7f800000, v3, vcc_lo
	s_delay_alu instid0(VALU_DEP_4) | instskip(NEXT) | instid1(VALU_DEP_1)
	v_add_nc_u32_e32 v2, 0xffffff88, v2
	v_cmp_lt_u32_e32 vcc_lo, 63, v2
	v_cndmask_b32_e64 v3, 0, 0xffffffc0, vcc_lo
	s_delay_alu instid0(VALU_DEP_1) | instskip(NEXT) | instid1(VALU_DEP_1)
	v_add_nc_u32_e32 v2, v3, v2
	v_cmp_lt_u32_e64 s9, 31, v2
	s_delay_alu instid0(VALU_DEP_1) | instskip(NEXT) | instid1(VALU_DEP_1)
	v_cndmask_b32_e64 v3, 0, 0xffffffe0, s9
	v_add_nc_u32_e32 v2, v3, v2
	s_delay_alu instid0(VALU_DEP_1) | instskip(NEXT) | instid1(VALU_DEP_1)
	v_cmp_lt_u32_e64 s10, 31, v2
	v_cndmask_b32_e64 v3, 0, 0xffffffe0, s10
	s_delay_alu instid0(VALU_DEP_1) | instskip(SKIP_1) | instid1(VALU_DEP_2)
	v_dual_add_nc_u32 v4, v3, v2 :: v_dual_mov_b32 v2, v49
	v_mov_b32_e32 v3, v29
	v_cmp_eq_u32_e64 s11, 0, v4
	v_sub_nc_u32_e32 v4, 32, v4
	s_delay_alu instid0(VALU_DEP_3) | instskip(NEXT) | instid1(VALU_DEP_1)
	v_mad_nc_u64_u32 v[2:3], 0x3c439041, v28, v[2:3]
	v_mov_b32_e32 v6, v3
	s_delay_alu instid0(VALU_DEP_1) | instskip(NEXT) | instid1(VALU_DEP_1)
	v_mad_nc_u64_u32 v[6:7], 0xdb629599, v28, v[6:7]
	v_mov_b32_e32 v42, v7
	s_delay_alu instid0(VALU_DEP_1) | instskip(NEXT) | instid1(VALU_DEP_1)
	v_mad_nc_u64_u32 v[42:43], 0xf534ddc0, v28, v[42:43]
	v_mov_b32_e32 v50, v43
	s_delay_alu instid0(VALU_DEP_1) | instskip(NEXT) | instid1(VALU_DEP_1)
	v_mad_nc_u64_u32 v[50:51], 0xfc2757d1, v28, v[50:51]
	v_dual_mov_b32 v52, v51 :: v_dual_mov_b32 v51, v29
	s_delay_alu instid0(VALU_DEP_1) | instskip(NEXT) | instid1(VALU_DEP_1)
	v_mad_nc_u64_u32 v[52:53], 0x4e441529, v28, v[52:53]
	v_dual_cndmask_b32 v3, v52, v42 :: v_dual_mov_b32 v54, v53
	v_mov_b32_e32 v53, v29
	s_delay_alu instid0(VALU_DEP_2) | instskip(NEXT) | instid1(VALU_DEP_1)
	v_mad_nc_u64_u32 v[54:55], 0xa2f9836e, v28, v[54:55]
	v_dual_cndmask_b32 v5, v54, v50 :: v_dual_cndmask_b32 v10, v55, v52
	s_delay_alu instid0(VALU_DEP_1) | instskip(SKIP_1) | instid1(VALU_DEP_2)
	v_dual_cndmask_b32 v7, v5, v3, s9 :: v_dual_cndmask_b32 v5, v10, v5, s9
	v_cndmask_b32_e32 v10, v50, v6, vcc_lo
	v_dual_cndmask_b32 v6, v6, v48, vcc_lo :: v_dual_cndmask_b32 v5, v5, v7, s10
	s_delay_alu instid0(VALU_DEP_2) | instskip(NEXT) | instid1(VALU_DEP_1)
	v_cndmask_b32_e64 v3, v3, v10, s9
	v_cndmask_b32_e64 v7, v7, v3, s10
	s_delay_alu instid0(VALU_DEP_1) | instskip(NEXT) | instid1(VALU_DEP_1)
	v_alignbit_b32 v28, v5, v7, v4
	v_dual_cndmask_b32 v5, v28, v5, s11 :: v_dual_cndmask_b32 v2, v42, v2, vcc_lo
	v_cmp_le_f32_e32 vcc_lo, 0, v38
	s_delay_alu instid0(VALU_DEP_2) | instskip(NEXT) | instid1(VALU_DEP_3)
	v_bfe_u32 v42, v5, 29, 1
	v_dual_cndmask_b32 v10, v10, v2, s9 :: v_dual_lshrrev_b32 v41, 29, v5
	s_delay_alu instid0(VALU_DEP_2) | instskip(NEXT) | instid1(VALU_DEP_2)
	v_sub_nc_u32_e32 v43, 0, v42
	v_cndmask_b32_e64 v3, v3, v10, s10
	s_delay_alu instid0(VALU_DEP_1) | instskip(NEXT) | instid1(VALU_DEP_1)
	v_alignbit_b32 v28, v7, v3, v4
	v_cndmask_b32_e64 v7, v28, v7, s11
	s_delay_alu instid0(VALU_DEP_1) | instskip(NEXT) | instid1(VALU_DEP_1)
	v_alignbit_b32 v28, v5, v7, 30
	v_dual_cndmask_b32 v2, v2, v6, s9 :: v_dual_bitop2_b32 v28, v28, v43 bitop3:0x14
	s_delay_alu instid0(VALU_DEP_1) | instskip(NEXT) | instid1(VALU_DEP_2)
	v_clz_i32_u32_e32 v6, v28
	v_cndmask_b32_e64 v2, v10, v2, s10
	s_delay_alu instid0(VALU_DEP_2) | instskip(NEXT) | instid1(VALU_DEP_2)
	v_min_u32_e32 v6, 32, v6
	v_alignbit_b32 v4, v3, v2, v4
	s_delay_alu instid0(VALU_DEP_1) | instskip(NEXT) | instid1(VALU_DEP_1)
	v_cndmask_b32_e64 v3, v4, v3, s11
	v_alignbit_b32 v4, v7, v3, 30
	s_delay_alu instid0(VALU_DEP_1) | instskip(SKIP_1) | instid1(VALU_DEP_1)
	v_xor_b32_e32 v4, v4, v43
	v_alignbit_b32 v2, v3, v2, 30
	v_dual_sub_nc_u32 v7, 31, v6 :: v_dual_bitop2_b32 v2, v2, v43 bitop3:0x14
	s_delay_alu instid0(VALU_DEP_1) | instskip(SKIP_2) | instid1(VALU_DEP_4)
	v_alignbit_b32 v10, v28, v4, v7
	v_mov_b32_e32 v43, v29
	v_and_or_b32 v28, v65, s49, 0x800000
	v_alignbit_b32 v2, v4, v2, v7
	s_delay_alu instid0(VALU_DEP_1) | instskip(NEXT) | instid1(VALU_DEP_1)
	v_alignbit_b32 v3, v10, v2, 9
	v_clz_i32_u32_e32 v4, v3
	s_delay_alu instid0(VALU_DEP_1) | instskip(NEXT) | instid1(VALU_DEP_1)
	v_min_u32_e32 v4, 32, v4
	v_not_b32_e32 v7, v4
	v_add_lshl_u32 v4, v4, v6, 23
	s_delay_alu instid0(VALU_DEP_2) | instskip(SKIP_1) | instid1(VALU_DEP_2)
	v_alignbit_b32 v2, v3, v2, v7
	v_lshlrev_b32_e32 v3, 31, v41
	v_dual_add_f32 v41, v40, v77 :: v_dual_lshrrev_b32 v2, 9, v2
	s_delay_alu instid0(VALU_DEP_2) | instskip(SKIP_1) | instid1(VALU_DEP_3)
	v_or_b32_e32 v7, 0x33000000, v3
	v_or_b32_e32 v3, 0.5, v3
	v_and_b32_e32 v62, 0x7fffffff, v41
	s_delay_alu instid0(VALU_DEP_3) | instskip(NEXT) | instid1(VALU_DEP_1)
	v_dual_mov_b32 v7, v29 :: v_dual_sub_nc_u32 v4, v7, v4
	v_or_b32_e32 v2, v4, v2
	v_lshrrev_b32_e32 v4, 9, v10
	v_lshlrev_b32_e32 v6, 23, v6
	s_delay_alu instid0(VALU_DEP_1) | instskip(NEXT) | instid1(VALU_DEP_1)
	v_sub_nc_u32_e32 v3, v3, v6
	v_or_b32_e32 v3, v4, v3
	s_delay_alu instid0(VALU_DEP_1) | instskip(NEXT) | instid1(VALU_DEP_1)
	v_mul_f32_e32 v4, 0x3fc90fda, v3
	v_fma_f32 v6, 0x3fc90fda, v3, -v4
	s_delay_alu instid0(VALU_DEP_1) | instskip(NEXT) | instid1(VALU_DEP_1)
	v_fmac_f32_e32 v6, 0x33a22168, v3
	v_fmac_f32_e32 v6, 0x3fc90fda, v2
	s_delay_alu instid0(VALU_DEP_1) | instskip(NEXT) | instid1(VALU_DEP_1)
	v_dual_add_f32 v93, v4, v6 :: v_dual_lshrrev_b32 v2, 30, v5
	v_add_nc_u32_e32 v94, v42, v2
	v_mul_f32_e64 v2, 0x3f22f983, |v91|
	s_delay_alu instid0(VALU_DEP_1) | instskip(NEXT) | instid1(VALU_DEP_1)
	v_rndne_f32_e32 v2, v2
	v_fma_f32 v95, 0xbfc90fda, v2, |v91|
	v_cvt_i32_f32_e32 v96, v2
	s_delay_alu instid0(VALU_DEP_2) | instskip(NEXT) | instid1(VALU_DEP_1)
	v_fmac_f32_e32 v95, 0xb3a22168, v2
	v_fmac_f32_e32 v95, 0xa7c234c4, v2
	v_cndmask_b32_e64 v2, 0, 2, vcc_lo
	v_cmp_le_f32_e32 vcc_lo, 0, v39
	v_cndmask_b32_e64 v3, 0, 1, vcc_lo
	v_cmp_gt_f32_e32 vcc_lo, 0xf800000, v40
	s_delay_alu instid0(VALU_DEP_2) | instskip(SKIP_1) | instid1(VALU_DEP_1)
	v_or_b32_e32 v110, v2, v3
	v_mov_b64_e32 v[2:3], 0x3f00000040000000
	v_pk_mul_f32 v[2:3], v[38:39], v[2:3]
	scratch_store_b64 off, v[2:3], off offset:4 ; 8-byte Folded Spill
	s_wait_xcnt 0x0
	v_mul_f32_e32 v2, 0x4f800000, v40
	s_delay_alu instid0(VALU_DEP_1) | instskip(NEXT) | instid1(VALU_DEP_1)
	v_cndmask_b32_e32 v2, v40, v2, vcc_lo
	v_sqrt_f32_e32 v3, v2
	v_nop
	s_delay_alu instid0(TRANS32_DEP_1) | instskip(NEXT) | instid1(VALU_DEP_1)
	v_add_nc_u32_e32 v4, -1, v3
	v_fma_f32 v5, -v4, v3, v2
	s_delay_alu instid0(VALU_DEP_1) | instskip(NEXT) | instid1(VALU_DEP_1)
	v_cmp_ge_f32_e64 s9, 0, v5
	v_dual_add_nc_u32 v5, 1, v3 :: v_dual_cndmask_b32 v4, v3, v4, s9
	s_delay_alu instid0(VALU_DEP_1) | instskip(NEXT) | instid1(VALU_DEP_1)
	v_fma_f32 v3, -v5, v3, v2
	v_cmp_lt_f32_e64 s9, 0, v3
	s_delay_alu instid0(VALU_DEP_1) | instskip(SKIP_1) | instid1(VALU_DEP_2)
	v_cndmask_b32_e64 v3, v4, v5, s9
	v_cmp_gt_f32_e64 s9, 0x48000000, |v41|
	v_mul_f32_e32 v4, 0x37800000, v3
	s_delay_alu instid0(VALU_DEP_1) | instskip(SKIP_1) | instid1(VALU_DEP_2)
	v_cndmask_b32_e32 v3, v3, v4, vcc_lo
	v_cmp_class_f32_e64 vcc_lo, v2, 0x260
	v_dual_cndmask_b32 v111, v3, v2 :: v_dual_mul_f32 v2, 0.5, v77
	scratch_store_b32 off, v2, off          ; 4-byte Folded Spill
	s_wait_xcnt 0x0
	v_mul_f32_e64 v2, 0x3f22f983, |v41|
	s_delay_alu instid0(VALU_DEP_1) | instskip(NEXT) | instid1(VALU_DEP_1)
	v_rndne_f32_e32 v2, v2
	v_fma_f32 v63, 0xbfc90fda, v2, |v41|
	v_cvt_i32_f32_e32 v68, v2
	s_delay_alu instid0(VALU_DEP_2) | instskip(NEXT) | instid1(VALU_DEP_1)
	v_fmac_f32_e32 v63, 0xb3a22168, v2
	v_dual_fmac_f32 v63, 0xa7c234c4, v2 :: v_dual_lshrrev_b32 v2, 23, v65
	s_delay_alu instid0(VALU_DEP_1) | instskip(NEXT) | instid1(VALU_DEP_1)
	v_add_nc_u32_e32 v2, 0xffffff88, v2
	v_cmp_lt_u32_e32 vcc_lo, 63, v2
	v_cndmask_b32_e64 v3, 0, 0xffffffc0, vcc_lo
	s_delay_alu instid0(VALU_DEP_1) | instskip(NEXT) | instid1(VALU_DEP_1)
	v_add_nc_u32_e32 v2, v3, v2
	v_cmp_lt_u32_e64 s10, 31, v2
	s_delay_alu instid0(VALU_DEP_1) | instskip(NEXT) | instid1(VALU_DEP_1)
	v_cndmask_b32_e64 v3, 0, 0xffffffe0, s10
	v_add_nc_u32_e32 v2, v3, v2
	s_delay_alu instid0(VALU_DEP_1) | instskip(NEXT) | instid1(VALU_DEP_1)
	v_cmp_lt_u32_e64 s11, 31, v2
	v_cndmask_b32_e64 v3, 0, 0xffffffe0, s11
	s_delay_alu instid0(VALU_DEP_1) | instskip(SKIP_1) | instid1(VALU_DEP_2)
	v_add_nc_u32_e32 v4, v3, v2
	v_mul_u64_e32 v[2:3], s[34:35], v[28:29]
	v_cmp_eq_u32_e64 s12, 0, v4
	s_delay_alu instid0(VALU_DEP_2) | instskip(NEXT) | instid1(VALU_DEP_1)
	v_dual_sub_nc_u32 v4, 32, v4 :: v_dual_mov_b32 v6, v3
	v_mad_nc_u64_u32 v[6:7], 0x3c439041, v28, v[6:7]
	s_delay_alu instid0(VALU_DEP_1) | instskip(NEXT) | instid1(VALU_DEP_1)
	v_mov_b32_e32 v42, v7
	v_mad_nc_u64_u32 v[42:43], 0xdb629599, v28, v[42:43]
	s_delay_alu instid0(VALU_DEP_1) | instskip(NEXT) | instid1(VALU_DEP_1)
	v_dual_mov_b32 v50, v43 :: v_dual_cndmask_b32 v2, v42, v2, vcc_lo
	v_mad_nc_u64_u32 v[50:51], 0xf534ddc0, v28, v[50:51]
	s_delay_alu instid0(VALU_DEP_1) | instskip(SKIP_1) | instid1(VALU_DEP_2)
	v_dual_mov_b32 v55, v29 :: v_dual_mov_b32 v52, v51
	v_mov_b32_e32 v51, v29
	v_mad_nc_u64_u32 v[52:53], 0xfc2757d1, v28, v[52:53]
	s_delay_alu instid0(VALU_DEP_1) | instskip(NEXT) | instid1(VALU_DEP_1)
	v_dual_mov_b32 v54, v53 :: v_dual_mov_b32 v53, v29
	v_mad_nc_u64_u32 v[54:55], 0x4e441529, v28, v[54:55]
	s_delay_alu instid0(VALU_DEP_1) | instskip(SKIP_1) | instid1(VALU_DEP_2)
	v_dual_mov_b32 v70, v55 :: v_dual_cndmask_b32 v3, v54, v50
	v_mov_b32_e32 v55, v29
	v_mad_nc_u64_u32 v[70:71], 0xa2f9836e, v28, v[70:71]
	s_delay_alu instid0(VALU_DEP_1) | instskip(NEXT) | instid1(VALU_DEP_1)
	v_dual_cndmask_b32 v5, v70, v52 :: v_dual_cndmask_b32 v10, v71, v54
	v_dual_cndmask_b32 v7, v5, v3, s10 :: v_dual_cndmask_b32 v5, v10, v5, s10
	s_delay_alu instid0(VALU_DEP_1) | instskip(NEXT) | instid1(VALU_DEP_1)
	v_dual_cndmask_b32 v10, v52, v42, vcc_lo :: v_dual_cndmask_b32 v5, v5, v7, s11
	v_cndmask_b32_e64 v3, v3, v10, s10
	s_delay_alu instid0(VALU_DEP_1) | instskip(NEXT) | instid1(VALU_DEP_1)
	v_cndmask_b32_e64 v7, v7, v3, s11
	v_alignbit_b32 v28, v5, v7, v4
	s_delay_alu instid0(VALU_DEP_1) | instskip(NEXT) | instid1(VALU_DEP_1)
	v_dual_cndmask_b32 v5, v28, v5, s12 :: v_dual_cndmask_b32 v6, v50, v6, vcc_lo
	v_dual_lshrrev_b32 v43, 29, v5 :: v_dual_cndmask_b32 v10, v10, v6, s10
	v_bfe_u32 v48, v5, 29, 1
	s_delay_alu instid0(VALU_DEP_1) | instskip(NEXT) | instid1(VALU_DEP_1)
	v_dual_cndmask_b32 v3, v3, v10, s11 :: v_dual_sub_nc_u32 v49, 0, v48
	v_alignbit_b32 v28, v7, v3, v4
	s_delay_alu instid0(VALU_DEP_1) | instskip(SKIP_1) | instid1(VALU_DEP_2)
	v_dual_cndmask_b32 v7, v28, v7, s12 :: v_dual_cndmask_b32 v2, v6, v2, s10
	v_cmp_class_f32_e64 s10, v64, 0x1f8
	v_alignbit_b32 v28, v5, v7, 30
	s_delay_alu instid0(VALU_DEP_3) | instskip(SKIP_1) | instid1(VALU_DEP_3)
	v_cndmask_b32_e64 v2, v10, v2, s11
	v_cmp_class_f32_e64 s11, v41, 0x1f8
	v_xor_b32_e32 v28, v28, v49
	s_delay_alu instid0(VALU_DEP_3) | instskip(NEXT) | instid1(VALU_DEP_2)
	v_alignbit_b32 v4, v3, v2, v4
	v_clz_i32_u32_e32 v6, v28
	s_delay_alu instid0(VALU_DEP_2) | instskip(NEXT) | instid1(VALU_DEP_2)
	v_cndmask_b32_e64 v3, v4, v3, s12
	v_min_u32_e32 v6, 32, v6
	s_delay_alu instid0(VALU_DEP_2) | instskip(NEXT) | instid1(VALU_DEP_1)
	v_alignbit_b32 v4, v7, v3, 30
	v_xor_b32_e32 v4, v4, v49
	v_alignbit_b32 v2, v3, v2, 30
	s_delay_alu instid0(VALU_DEP_1) | instskip(NEXT) | instid1(VALU_DEP_1)
	v_dual_sub_nc_u32 v7, 31, v6 :: v_dual_bitop2_b32 v2, v2, v49 bitop3:0x14
	v_alignbit_b32 v10, v28, v4, v7
	v_and_or_b32 v28, v78, s49, 0x800000
	s_delay_alu instid0(VALU_DEP_3) | instskip(NEXT) | instid1(VALU_DEP_1)
	v_alignbit_b32 v2, v4, v2, v7
	v_alignbit_b32 v3, v10, v2, 9
	s_delay_alu instid0(VALU_DEP_1) | instskip(NEXT) | instid1(VALU_DEP_1)
	v_clz_i32_u32_e32 v4, v3
	v_min_u32_e32 v4, 32, v4
	s_delay_alu instid0(VALU_DEP_1) | instskip(SKIP_1) | instid1(VALU_DEP_2)
	v_not_b32_e32 v7, v4
	v_add_lshl_u32 v4, v4, v6, 23
	v_alignbit_b32 v2, v3, v2, v7
	v_dual_lshlrev_b32 v3, 31, v43 :: v_dual_mov_b32 v43, v29
	s_delay_alu instid0(VALU_DEP_2) | instskip(NEXT) | instid1(VALU_DEP_2)
	v_lshrrev_b32_e32 v2, 9, v2
	v_or_b32_e32 v7, 0x33000000, v3
	s_delay_alu instid0(VALU_DEP_1) | instskip(NEXT) | instid1(VALU_DEP_1)
	v_dual_sub_nc_u32 v4, v7, v4 :: v_dual_bitop2_b32 v3, 0.5, v3 bitop3:0x54
	v_dual_mov_b32 v7, v29 :: v_dual_bitop2_b32 v2, v4, v2 bitop3:0x54
	v_lshrrev_b32_e32 v4, 9, v10
	v_lshlrev_b32_e32 v6, 23, v6
	s_delay_alu instid0(VALU_DEP_1) | instskip(NEXT) | instid1(VALU_DEP_1)
	v_sub_nc_u32_e32 v3, v3, v6
	v_or_b32_e32 v3, v4, v3
	s_delay_alu instid0(VALU_DEP_1) | instskip(NEXT) | instid1(VALU_DEP_1)
	v_mul_f32_e32 v4, 0x3fc90fda, v3
	v_fma_f32 v6, 0x3fc90fda, v3, -v4
	s_delay_alu instid0(VALU_DEP_1) | instskip(NEXT) | instid1(VALU_DEP_1)
	v_fmac_f32_e32 v6, 0x33a22168, v3
	v_fmac_f32_e32 v6, 0x3fc90fda, v2
	s_delay_alu instid0(VALU_DEP_1) | instskip(NEXT) | instid1(VALU_DEP_1)
	v_dual_add_f32 v119, v4, v6 :: v_dual_lshrrev_b32 v2, 30, v5
	v_add_nc_u32_e32 v120, v48, v2
	v_mul_f32_e64 v2, 0x3f22f983, |v64|
	s_delay_alu instid0(VALU_DEP_1) | instskip(NEXT) | instid1(VALU_DEP_1)
	v_rndne_f32_e32 v2, v2
	v_fma_f32 v121, 0xbfc90fda, v2, |v64|
	v_cvt_i32_f32_e32 v122, v2
	s_delay_alu instid0(VALU_DEP_2) | instskip(NEXT) | instid1(VALU_DEP_1)
	v_fmac_f32_e32 v121, 0xb3a22168, v2
	v_fmac_f32_e32 v121, 0xa7c234c4, v2
	v_lshrrev_b32_e32 v2, 23, v78
	s_delay_alu instid0(VALU_DEP_1) | instskip(NEXT) | instid1(VALU_DEP_1)
	v_add_nc_u32_e32 v2, 0xffffff88, v2
	v_cmp_lt_u32_e32 vcc_lo, 63, v2
	v_cndmask_b32_e64 v3, 0, 0xffffffc0, vcc_lo
	s_delay_alu instid0(VALU_DEP_1) | instskip(NEXT) | instid1(VALU_DEP_1)
	v_add_nc_u32_e32 v2, v3, v2
	v_cmp_lt_u32_e64 s12, 31, v2
	s_delay_alu instid0(VALU_DEP_1) | instskip(NEXT) | instid1(VALU_DEP_1)
	v_cndmask_b32_e64 v3, 0, 0xffffffe0, s12
	v_add_nc_u32_e32 v2, v3, v2
	s_delay_alu instid0(VALU_DEP_1) | instskip(NEXT) | instid1(VALU_DEP_1)
	v_cmp_lt_u32_e64 s14, 31, v2
	v_cndmask_b32_e64 v3, 0, 0xffffffe0, s14
	s_delay_alu instid0(VALU_DEP_1) | instskip(SKIP_1) | instid1(VALU_DEP_2)
	v_add_nc_u32_e32 v4, v3, v2
	v_mul_u64_e32 v[2:3], s[34:35], v[28:29]
	v_cmp_eq_u32_e64 s16, 0, v4
	s_delay_alu instid0(VALU_DEP_2) | instskip(NEXT) | instid1(VALU_DEP_1)
	v_dual_sub_nc_u32 v4, 32, v4 :: v_dual_mov_b32 v6, v3
	v_mad_nc_u64_u32 v[6:7], 0x3c439041, v28, v[6:7]
	s_delay_alu instid0(VALU_DEP_1) | instskip(NEXT) | instid1(VALU_DEP_1)
	v_mov_b32_e32 v42, v7
	v_mad_nc_u64_u32 v[42:43], 0xdb629599, v28, v[42:43]
	s_delay_alu instid0(VALU_DEP_1) | instskip(NEXT) | instid1(VALU_DEP_1)
	v_dual_mov_b32 v50, v43 :: v_dual_cndmask_b32 v2, v42, v2, vcc_lo
	v_mad_nc_u64_u32 v[50:51], 0xf534ddc0, v28, v[50:51]
	s_delay_alu instid0(VALU_DEP_1) | instskip(SKIP_1) | instid1(VALU_DEP_2)
	v_dual_mov_b32 v52, v51 :: v_dual_cndmask_b32 v6, v50, v6, vcc_lo
	v_mov_b32_e32 v51, v29
	v_mad_nc_u64_u32 v[52:53], 0xfc2757d1, v28, v[52:53]
	s_delay_alu instid0(VALU_DEP_3) | instskip(NEXT) | instid1(VALU_DEP_2)
	v_dual_mov_b32 v71, v29 :: v_dual_cndmask_b32 v2, v6, v2, s12
	v_dual_mov_b32 v54, v53 :: v_dual_mov_b32 v53, v29
	s_delay_alu instid0(VALU_DEP_1) | instskip(NEXT) | instid1(VALU_DEP_1)
	v_mad_nc_u64_u32 v[54:55], 0x4e441529, v28, v[54:55]
	v_dual_cndmask_b32 v3, v54, v50 :: v_dual_mov_b32 v70, v55
	v_mov_b32_e32 v55, v29
	s_delay_alu instid0(VALU_DEP_2) | instskip(NEXT) | instid1(VALU_DEP_1)
	v_mad_nc_u64_u32 v[70:71], 0xa2f9836e, v28, v[70:71]
	v_dual_cndmask_b32 v5, v70, v52 :: v_dual_cndmask_b32 v10, v71, v54
	v_mul_f32_e32 v70, 0x40490fdb, v40
	v_xor_b32_e32 v71, 0x80000000, v40
	s_delay_alu instid0(VALU_DEP_3) | instskip(SKIP_1) | instid1(VALU_DEP_4)
	v_dual_cndmask_b32 v7, v5, v3, s12 :: v_dual_cndmask_b32 v5, v10, v5, s12
	v_cndmask_b32_e32 v10, v52, v42, vcc_lo
	v_and_b32_e32 v75, 0x7fffffff, v70
	s_delay_alu instid0(VALU_DEP_2) | instskip(NEXT) | instid1(VALU_DEP_1)
	v_dual_cndmask_b32 v5, v5, v7, s14 :: v_dual_cndmask_b32 v3, v3, v10, s12
	v_dual_cndmask_b32 v7, v7, v3, s14 :: v_dual_cndmask_b32 v10, v10, v6, s12
	v_cmp_class_f32_e64 s12, v40, 0x1f8
	s_delay_alu instid0(VALU_DEP_2) | instskip(NEXT) | instid1(VALU_DEP_1)
	v_alignbit_b32 v28, v5, v7, v4
	v_dual_cndmask_b32 v5, v28, v5, s16 :: v_dual_cndmask_b32 v3, v3, v10, s14
	s_delay_alu instid0(VALU_DEP_1) | instskip(NEXT) | instid1(VALU_DEP_2)
	v_lshrrev_b32_e32 v43, 29, v5
	v_alignbit_b32 v28, v7, v3, v4
	v_bfe_u32 v48, v5, 29, 1
	s_delay_alu instid0(VALU_DEP_1) | instskip(SKIP_2) | instid1(VALU_DEP_3)
	v_dual_cndmask_b32 v7, v28, v7, s16 :: v_dual_sub_nc_u32 v49, 0, v48
	v_cndmask_b32_e64 v2, v10, v2, s14
	v_cmp_gt_f32_e64 s14, 0x48000000, |v70|
	v_alignbit_b32 v28, v5, v7, 30
	s_delay_alu instid0(VALU_DEP_3) | instskip(NEXT) | instid1(VALU_DEP_2)
	v_alignbit_b32 v4, v3, v2, v4
	v_xor_b32_e32 v28, v28, v49
	s_delay_alu instid0(VALU_DEP_2) | instskip(NEXT) | instid1(VALU_DEP_2)
	v_cndmask_b32_e64 v3, v4, v3, s16
	v_clz_i32_u32_e32 v6, v28
	s_delay_alu instid0(VALU_DEP_2) | instskip(SKIP_1) | instid1(VALU_DEP_3)
	v_alignbit_b32 v4, v7, v3, 30
	v_alignbit_b32 v2, v3, v2, 30
	v_min_u32_e32 v6, 32, v6
	s_delay_alu instid0(VALU_DEP_3) | instskip(NEXT) | instid1(VALU_DEP_2)
	v_xor_b32_e32 v4, v4, v49
	v_dual_sub_nc_u32 v7, 31, v6 :: v_dual_bitop2_b32 v2, v2, v49 bitop3:0x14
	s_delay_alu instid0(VALU_DEP_1) | instskip(NEXT) | instid1(VALU_DEP_2)
	v_alignbit_b32 v10, v28, v4, v7
	v_alignbit_b32 v2, v4, v2, v7
	v_and_or_b32 v28, v75, s49, 0x800000
	s_delay_alu instid0(VALU_DEP_2) | instskip(NEXT) | instid1(VALU_DEP_1)
	v_alignbit_b32 v3, v10, v2, 9
	v_clz_i32_u32_e32 v4, v3
	s_delay_alu instid0(VALU_DEP_1) | instskip(NEXT) | instid1(VALU_DEP_1)
	v_min_u32_e32 v4, 32, v4
	v_not_b32_e32 v7, v4
	v_add_lshl_u32 v4, v4, v6, 23
	s_delay_alu instid0(VALU_DEP_2) | instskip(SKIP_1) | instid1(VALU_DEP_1)
	v_alignbit_b32 v2, v3, v2, v7
	v_dual_lshlrev_b32 v3, 31, v43 :: v_dual_mov_b32 v43, v29
	v_or_b32_e32 v7, 0x33000000, v3
	s_delay_alu instid0(VALU_DEP_3) | instskip(NEXT) | instid1(VALU_DEP_2)
	v_dual_lshrrev_b32 v2, 9, v2 :: v_dual_bitop2_b32 v3, 0.5, v3 bitop3:0x54
	v_dual_mov_b32 v7, v29 :: v_dual_sub_nc_u32 v4, v7, v4
	s_delay_alu instid0(VALU_DEP_1) | instskip(SKIP_2) | instid1(VALU_DEP_1)
	v_or_b32_e32 v2, v4, v2
	v_lshrrev_b32_e32 v4, 9, v10
	v_lshlrev_b32_e32 v6, 23, v6
	v_sub_nc_u32_e32 v3, v3, v6
	s_delay_alu instid0(VALU_DEP_1) | instskip(NEXT) | instid1(VALU_DEP_1)
	v_or_b32_e32 v3, v4, v3
	v_mul_f32_e32 v4, 0x3fc90fda, v3
	s_delay_alu instid0(VALU_DEP_1) | instskip(NEXT) | instid1(VALU_DEP_1)
	v_fma_f32 v6, 0x3fc90fda, v3, -v4
	v_fmac_f32_e32 v6, 0x33a22168, v3
	s_delay_alu instid0(VALU_DEP_1) | instskip(SKIP_1) | instid1(VALU_DEP_1)
	v_fmac_f32_e32 v6, 0x3fc90fda, v2
	v_lshrrev_b32_e32 v2, 30, v5
	v_add_nc_u32_e32 v123, v48, v2
	v_mul_f32_e64 v2, 0x3f22f983, |v40|
	s_delay_alu instid0(VALU_DEP_4) | instskip(NEXT) | instid1(VALU_DEP_2)
	v_add_f32_e32 v79, v4, v6
	v_rndne_f32_e32 v2, v2
	s_delay_alu instid0(VALU_DEP_1) | instskip(SKIP_1) | instid1(VALU_DEP_2)
	v_fma_f32 v124, 0xbfc90fda, v2, |v40|
	v_cvt_i32_f32_e32 v125, v2
	v_fmac_f32_e32 v124, 0xb3a22168, v2
	s_delay_alu instid0(VALU_DEP_1) | instskip(SKIP_1) | instid1(VALU_DEP_1)
	v_fmac_f32_e32 v124, 0xa7c234c4, v2
	v_lshrrev_b32_e32 v2, 23, v75
	v_add_nc_u32_e32 v2, 0xffffff88, v2
	s_delay_alu instid0(VALU_DEP_1) | instskip(SKIP_1) | instid1(VALU_DEP_1)
	v_cmp_lt_u32_e32 vcc_lo, 63, v2
	v_cndmask_b32_e64 v3, 0, 0xffffffc0, vcc_lo
	v_add_nc_u32_e32 v2, v3, v2
	s_delay_alu instid0(VALU_DEP_1) | instskip(NEXT) | instid1(VALU_DEP_1)
	v_cmp_lt_u32_e64 s16, 31, v2
	v_cndmask_b32_e64 v3, 0, 0xffffffe0, s16
	s_delay_alu instid0(VALU_DEP_1) | instskip(NEXT) | instid1(VALU_DEP_1)
	v_add_nc_u32_e32 v2, v3, v2
	v_cmp_lt_u32_e64 s17, 31, v2
	s_delay_alu instid0(VALU_DEP_1) | instskip(NEXT) | instid1(VALU_DEP_1)
	v_cndmask_b32_e64 v3, 0, 0xffffffe0, s17
	v_add_nc_u32_e32 v4, v3, v2
	v_mul_u64_e32 v[2:3], s[34:35], v[28:29]
	s_delay_alu instid0(VALU_DEP_1) | instskip(NEXT) | instid1(VALU_DEP_1)
	v_mov_b32_e32 v6, v3
	v_mad_nc_u64_u32 v[6:7], 0x3c439041, v28, v[6:7]
	s_delay_alu instid0(VALU_DEP_1) | instskip(NEXT) | instid1(VALU_DEP_1)
	v_mov_b32_e32 v42, v7
	v_mad_nc_u64_u32 v[42:43], 0xdb629599, v28, v[42:43]
	s_delay_alu instid0(VALU_DEP_1) | instskip(NEXT) | instid1(VALU_DEP_1)
	v_dual_mov_b32 v50, v43 :: v_dual_cndmask_b32 v2, v42, v2, vcc_lo
	v_mad_nc_u64_u32 v[50:51], 0xf534ddc0, v28, v[50:51]
	s_delay_alu instid0(VALU_DEP_1) | instskip(SKIP_1) | instid1(VALU_DEP_2)
	v_dual_mov_b32 v52, v51 :: v_dual_cndmask_b32 v6, v50, v6, vcc_lo
	v_mov_b32_e32 v51, v29
	v_mad_nc_u64_u32 v[52:53], 0xfc2757d1, v28, v[52:53]
	s_delay_alu instid0(VALU_DEP_1) | instskip(SKIP_1) | instid1(VALU_DEP_2)
	v_dual_cndmask_b32 v2, v6, v2, s16 :: v_dual_mov_b32 v54, v53
	v_mov_b32_e32 v53, v29
	v_mad_nc_u64_u32 v[54:55], 0x4e441529, v28, v[54:55]
	s_delay_alu instid0(VALU_DEP_1) | instskip(SKIP_1) | instid1(VALU_DEP_2)
	v_dual_mov_b32 v82, v55 :: v_dual_cndmask_b32 v3, v54, v50
	v_mov_b32_e32 v55, v29
	v_mad_nc_u64_u32 v[82:83], 0xa2f9836e, v28, v[82:83]
	s_delay_alu instid0(VALU_DEP_1) | instskip(NEXT) | instid1(VALU_DEP_1)
	v_cndmask_b32_e32 v5, v82, v52, vcc_lo
	v_dual_cndmask_b32 v7, v5, v3, s16 :: v_dual_cndmask_b32 v10, v83, v54, vcc_lo
	v_cmp_eq_u32_e64 s18, 0, v4
	s_delay_alu instid0(VALU_DEP_2) | instskip(NEXT) | instid1(VALU_DEP_1)
	v_dual_sub_nc_u32 v4, 32, v4 :: v_dual_cndmask_b32 v5, v10, v5, s16
	v_dual_cndmask_b32 v10, v52, v42, vcc_lo :: v_dual_cndmask_b32 v5, v5, v7, s17
	s_delay_alu instid0(VALU_DEP_1) | instskip(NEXT) | instid1(VALU_DEP_1)
	v_cndmask_b32_e64 v3, v3, v10, s16
	v_dual_cndmask_b32 v7, v7, v3, s17 :: v_dual_cndmask_b32 v10, v10, v6, s16
	v_cmp_class_f32_e64 s16, v70, 0x1f8
	s_delay_alu instid0(VALU_DEP_2) | instskip(NEXT) | instid1(VALU_DEP_1)
	v_alignbit_b32 v12, v5, v7, v4
	v_dual_cndmask_b32 v5, v12, v5, s18 :: v_dual_cndmask_b32 v3, v3, v10, s17
	s_delay_alu instid0(VALU_DEP_1) | instskip(NEXT) | instid1(VALU_DEP_2)
	v_lshrrev_b32_e32 v28, 29, v5
	v_alignbit_b32 v12, v7, v3, v4
	v_bfe_u32 v43, v5, 29, 1
	s_delay_alu instid0(VALU_DEP_2) | instskip(NEXT) | instid1(VALU_DEP_2)
	v_cndmask_b32_e64 v7, v12, v7, s18
	v_dual_sub_nc_u32 v48, 0, v43 :: v_dual_cndmask_b32 v2, v10, v2, s17
	v_cmp_gt_f32_e64 s17, 0x48000000, |v85|
	s_delay_alu instid0(VALU_DEP_3) | instskip(NEXT) | instid1(VALU_DEP_3)
	v_alignbit_b32 v12, v5, v7, 30
	v_alignbit_b32 v4, v3, v2, v4
	s_delay_alu instid0(VALU_DEP_2) | instskip(NEXT) | instid1(VALU_DEP_2)
	v_xor_b32_e32 v12, v12, v48
	v_cndmask_b32_e64 v3, v4, v3, s18
	s_delay_alu instid0(VALU_DEP_2) | instskip(NEXT) | instid1(VALU_DEP_2)
	v_clz_i32_u32_e32 v6, v12
	v_alignbit_b32 v4, v7, v3, 30
	v_alignbit_b32 v2, v3, v2, 30
	s_delay_alu instid0(VALU_DEP_3) | instskip(NEXT) | instid1(VALU_DEP_1)
	v_min_u32_e32 v6, 32, v6
	v_dual_sub_nc_u32 v7, 31, v6 :: v_dual_bitop2_b32 v4, v4, v48 bitop3:0x14
	s_delay_alu instid0(VALU_DEP_1) | instskip(NEXT) | instid1(VALU_DEP_4)
	v_alignbit_b32 v10, v12, v4, v7
	v_xor_b32_e32 v2, v2, v48
	s_delay_alu instid0(VALU_DEP_1) | instskip(NEXT) | instid1(VALU_DEP_1)
	v_alignbit_b32 v2, v4, v2, v7
	v_alignbit_b32 v3, v10, v2, 9
	s_delay_alu instid0(VALU_DEP_1) | instskip(NEXT) | instid1(VALU_DEP_1)
	v_clz_i32_u32_e32 v4, v3
	v_min_u32_e32 v4, 32, v4
	s_delay_alu instid0(VALU_DEP_1) | instskip(SKIP_1) | instid1(VALU_DEP_2)
	v_not_b32_e32 v7, v4
	v_add_lshl_u32 v4, v4, v6, 23
	v_alignbit_b32 v2, v3, v2, v7
	v_lshlrev_b32_e32 v3, 31, v28
	v_and_or_b32 v28, v86, s49, 0x800000
	s_delay_alu instid0(VALU_DEP_3) | instskip(NEXT) | instid1(VALU_DEP_3)
	v_lshrrev_b32_e32 v2, 9, v2
	v_or_b32_e32 v7, 0x33000000, v3
	s_delay_alu instid0(VALU_DEP_1) | instskip(NEXT) | instid1(VALU_DEP_1)
	v_dual_sub_nc_u32 v4, v7, v4 :: v_dual_bitop2_b32 v3, 0.5, v3 bitop3:0x54
	v_dual_mov_b32 v7, v29 :: v_dual_bitop2_b32 v2, v4, v2 bitop3:0x54
	v_lshrrev_b32_e32 v4, 9, v10
	v_lshlrev_b32_e32 v6, 23, v6
	s_delay_alu instid0(VALU_DEP_1) | instskip(NEXT) | instid1(VALU_DEP_1)
	v_sub_nc_u32_e32 v3, v3, v6
	v_or_b32_e32 v3, v4, v3
	s_delay_alu instid0(VALU_DEP_1) | instskip(NEXT) | instid1(VALU_DEP_1)
	v_mul_f32_e32 v4, 0x3fc90fda, v3
	v_fma_f32 v6, 0x3fc90fda, v3, -v4
	s_delay_alu instid0(VALU_DEP_1) | instskip(NEXT) | instid1(VALU_DEP_1)
	v_fmac_f32_e32 v6, 0x33a22168, v3
	v_fmac_f32_e32 v6, 0x3fc90fda, v2
	v_lshrrev_b32_e32 v2, 30, v5
	s_delay_alu instid0(VALU_DEP_1) | instskip(SKIP_1) | instid1(VALU_DEP_4)
	v_add_nc_u32_e32 v82, v43, v2
	v_mul_f32_e64 v2, 0x3f22f983, |v70|
	v_dual_mov_b32 v43, v29 :: v_dual_add_f32 v81, v4, v6
	s_delay_alu instid0(VALU_DEP_2) | instskip(NEXT) | instid1(VALU_DEP_1)
	v_rndne_f32_e32 v2, v2
	v_fma_f32 v83, 0xbfc90fda, v2, |v70|
	v_cvt_i32_f32_e32 v84, v2
	s_delay_alu instid0(VALU_DEP_2) | instskip(NEXT) | instid1(VALU_DEP_1)
	v_fmac_f32_e32 v83, 0xb3a22168, v2
	v_fmac_f32_e32 v83, 0xa7c234c4, v2
	v_lshrrev_b32_e32 v2, 23, v86
	s_delay_alu instid0(VALU_DEP_1) | instskip(NEXT) | instid1(VALU_DEP_1)
	v_add_nc_u32_e32 v2, 0xffffff88, v2
	v_cmp_lt_u32_e32 vcc_lo, 63, v2
	v_cndmask_b32_e64 v3, 0, 0xffffffc0, vcc_lo
	s_delay_alu instid0(VALU_DEP_1) | instskip(NEXT) | instid1(VALU_DEP_1)
	v_add_nc_u32_e32 v2, v3, v2
	v_cmp_lt_u32_e64 s18, 31, v2
	s_delay_alu instid0(VALU_DEP_1) | instskip(NEXT) | instid1(VALU_DEP_1)
	v_cndmask_b32_e64 v3, 0, 0xffffffe0, s18
	v_add_nc_u32_e32 v2, v3, v2
	s_delay_alu instid0(VALU_DEP_1) | instskip(NEXT) | instid1(VALU_DEP_1)
	v_cmp_lt_u32_e64 s20, 31, v2
	v_cndmask_b32_e64 v3, 0, 0xffffffe0, s20
	s_delay_alu instid0(VALU_DEP_1) | instskip(SKIP_1) | instid1(VALU_DEP_1)
	v_add_nc_u32_e32 v4, v3, v2
	v_mul_u64_e32 v[2:3], s[34:35], v[28:29]
	v_mov_b32_e32 v6, v3
	s_delay_alu instid0(VALU_DEP_1) | instskip(NEXT) | instid1(VALU_DEP_1)
	v_mad_nc_u64_u32 v[6:7], 0x3c439041, v28, v[6:7]
	v_mov_b32_e32 v42, v7
	s_delay_alu instid0(VALU_DEP_1) | instskip(NEXT) | instid1(VALU_DEP_1)
	v_mad_nc_u64_u32 v[42:43], 0xdb629599, v28, v[42:43]
	v_dual_mov_b32 v50, v43 :: v_dual_cndmask_b32 v2, v42, v2, vcc_lo
	s_delay_alu instid0(VALU_DEP_1) | instskip(NEXT) | instid1(VALU_DEP_1)
	v_mad_nc_u64_u32 v[50:51], 0xf534ddc0, v28, v[50:51]
	v_dual_mov_b32 v52, v51 :: v_dual_cndmask_b32 v6, v50, v6, vcc_lo
	s_delay_alu instid0(VALU_DEP_1) | instskip(NEXT) | instid1(VALU_DEP_2)
	v_mad_nc_u64_u32 v[52:53], 0xfc2757d1, v28, v[52:53]
	v_dual_mov_b32 v89, v29 :: v_dual_cndmask_b32 v2, v6, v2, s18
	s_delay_alu instid0(VALU_DEP_2) | instskip(SKIP_2) | instid1(VALU_DEP_3)
	v_mov_b32_e32 v54, v53
	v_cmp_eq_u32_e64 s22, 0, v4
	v_sub_nc_u32_e32 v4, 32, v4
	v_mad_nc_u64_u32 v[54:55], 0x4e441529, v28, v[54:55]
	s_delay_alu instid0(VALU_DEP_1) | instskip(SKIP_1) | instid1(VALU_DEP_2)
	v_dual_cndmask_b32 v3, v54, v50 :: v_dual_mov_b32 v88, v55
	v_mov_b32_e32 v55, v29
	v_mad_nc_u64_u32 v[88:89], 0xa2f9836e, v28, v[88:89]
	s_delay_alu instid0(VALU_DEP_1) | instskip(NEXT) | instid1(VALU_DEP_1)
	v_dual_cndmask_b32 v5, v88, v52 :: v_dual_cndmask_b32 v10, v89, v54
	v_dual_cndmask_b32 v7, v5, v3, s18 :: v_dual_cndmask_b32 v5, v10, v5, s18
	s_delay_alu instid0(VALU_DEP_1) | instskip(NEXT) | instid1(VALU_DEP_1)
	v_dual_cndmask_b32 v10, v52, v42, vcc_lo :: v_dual_cndmask_b32 v5, v5, v7, s20
	v_cndmask_b32_e64 v3, v3, v10, s18
	s_delay_alu instid0(VALU_DEP_1) | instskip(SKIP_1) | instid1(VALU_DEP_2)
	v_dual_cndmask_b32 v7, v7, v3, s20 :: v_dual_cndmask_b32 v10, v10, v6, s18
	v_cmp_class_f32_e64 s18, v85, 0x1f8
	v_alignbit_b32 v12, v5, v7, v4
	s_delay_alu instid0(VALU_DEP_1) | instskip(NEXT) | instid1(VALU_DEP_1)
	v_dual_cndmask_b32 v5, v12, v5, s22 :: v_dual_cndmask_b32 v3, v3, v10, s20
	v_lshrrev_b32_e32 v28, 29, v5
	s_delay_alu instid0(VALU_DEP_2) | instskip(SKIP_1) | instid1(VALU_DEP_2)
	v_alignbit_b32 v12, v7, v3, v4
	v_bfe_u32 v43, v5, 29, 1
	v_cndmask_b32_e64 v7, v12, v7, s22
	s_delay_alu instid0(VALU_DEP_2) | instskip(SKIP_1) | instid1(VALU_DEP_3)
	v_dual_sub_nc_u32 v48, 0, v43 :: v_dual_cndmask_b32 v2, v10, v2, s20
	v_cmp_gt_f32_e64 s20, 0x48000000, |v74|
	v_alignbit_b32 v12, v5, v7, 30
	s_delay_alu instid0(VALU_DEP_3) | instskip(NEXT) | instid1(VALU_DEP_2)
	v_alignbit_b32 v4, v3, v2, v4
	v_xor_b32_e32 v12, v12, v48
	s_delay_alu instid0(VALU_DEP_2) | instskip(NEXT) | instid1(VALU_DEP_2)
	v_cndmask_b32_e64 v3, v4, v3, s22
	v_clz_i32_u32_e32 v6, v12
	s_delay_alu instid0(VALU_DEP_2) | instskip(SKIP_1) | instid1(VALU_DEP_3)
	v_alignbit_b32 v4, v7, v3, 30
	v_alignbit_b32 v2, v3, v2, 30
	v_min_u32_e32 v6, 32, v6
	s_delay_alu instid0(VALU_DEP_1) | instskip(NEXT) | instid1(VALU_DEP_1)
	v_dual_sub_nc_u32 v7, 31, v6 :: v_dual_bitop2_b32 v4, v4, v48 bitop3:0x14
	v_alignbit_b32 v10, v12, v4, v7
	s_delay_alu instid0(VALU_DEP_4) | instskip(NEXT) | instid1(VALU_DEP_1)
	v_dual_mov_b32 v12, v39 :: v_dual_bitop2_b32 v2, v2, v48 bitop3:0x14
	v_alignbit_b32 v2, v4, v2, v7
	s_delay_alu instid0(VALU_DEP_2) | instskip(NEXT) | instid1(VALU_DEP_2)
	v_pk_mul_f32 v[50:51], v[38:39], v[12:13] op_sel_hi:[0,1]
	v_alignbit_b32 v3, v10, v2, 9
	s_delay_alu instid0(VALU_DEP_1) | instskip(NEXT) | instid1(VALU_DEP_1)
	v_clz_i32_u32_e32 v4, v3
	v_min_u32_e32 v4, 32, v4
	s_delay_alu instid0(VALU_DEP_1) | instskip(SKIP_1) | instid1(VALU_DEP_2)
	v_not_b32_e32 v7, v4
	v_add_lshl_u32 v4, v4, v6, 23
	v_alignbit_b32 v2, v3, v2, v7
	s_delay_alu instid0(VALU_DEP_1) | instskip(NEXT) | instid1(VALU_DEP_1)
	v_dual_lshlrev_b32 v3, 31, v28 :: v_dual_lshrrev_b32 v2, 9, v2
	v_or_b32_e32 v7, 0x33000000, v3
	s_delay_alu instid0(VALU_DEP_1) | instskip(NEXT) | instid1(VALU_DEP_1)
	v_dual_sub_nc_u32 v4, v7, v4 :: v_dual_bitop2_b32 v3, 0.5, v3 bitop3:0x54
	v_or_b32_e32 v2, v4, v2
	v_lshrrev_b32_e32 v4, 9, v10
	v_lshlrev_b32_e32 v6, 23, v6
	s_delay_alu instid0(VALU_DEP_1) | instskip(NEXT) | instid1(VALU_DEP_1)
	v_sub_nc_u32_e32 v3, v3, v6
	v_or_b32_e32 v3, v4, v3
	s_delay_alu instid0(VALU_DEP_1) | instskip(NEXT) | instid1(VALU_DEP_1)
	v_mul_f32_e32 v4, 0x3fc90fda, v3
	v_fma_f32 v6, 0x3fc90fda, v3, -v4
	s_delay_alu instid0(VALU_DEP_1) | instskip(NEXT) | instid1(VALU_DEP_1)
	v_fmac_f32_e32 v6, 0x33a22168, v3
	v_fmac_f32_e32 v6, 0x3fc90fda, v2
	s_delay_alu instid0(VALU_DEP_1) | instskip(NEXT) | instid1(VALU_DEP_1)
	v_dual_add_f32 v87, v4, v6 :: v_dual_lshrrev_b32 v2, 30, v5
	v_add_nc_u32_e32 v88, v43, v2
	v_mul_f32_e64 v2, 0x3f22f983, |v85|
	v_mov_b32_e32 v43, v29
	s_delay_alu instid0(VALU_DEP_2) | instskip(NEXT) | instid1(VALU_DEP_1)
	v_rndne_f32_e32 v2, v2
	v_fma_f32 v89, 0xbfc90fda, v2, |v85|
	v_cvt_i32_f32_e32 v90, v2
	s_delay_alu instid0(VALU_DEP_2) | instskip(NEXT) | instid1(VALU_DEP_1)
	v_fmac_f32_e32 v89, 0xb3a22168, v2
	v_fmac_f32_e32 v89, 0xa7c234c4, v2
	v_div_scale_f32 v2, null, 0x40490fdb, 0x40490fdb, v77
	s_delay_alu instid0(VALU_DEP_1) | instskip(SKIP_1) | instid1(TRANS32_DEP_1)
	v_rcp_f32_e32 v3, v2
	v_nop
	v_fma_f32 v4, -v2, v3, 1.0
	s_delay_alu instid0(VALU_DEP_1) | instskip(SKIP_1) | instid1(VALU_DEP_1)
	v_fmac_f32_e32 v3, v4, v3
	v_div_scale_f32 v4, vcc_lo, v77, 0x40490fdb, v77
	v_mul_f32_e32 v5, v4, v3
	s_delay_alu instid0(VALU_DEP_1) | instskip(NEXT) | instid1(VALU_DEP_1)
	v_fma_f32 v6, -v2, v5, v4
	v_fmac_f32_e32 v5, v6, v3
	v_pk_add_f32 v[6:7], v[38:39], v[12:13]
	v_mov_b32_e32 v7, v51
	v_and_b32_e32 v12, 0x7fffffff, v74
	s_delay_alu instid0(VALU_DEP_4) | instskip(NEXT) | instid1(VALU_DEP_2)
	v_fma_f32 v2, -v2, v5, v4
	v_and_or_b32 v28, v12, s49, 0x800000
	s_delay_alu instid0(VALU_DEP_2) | instskip(NEXT) | instid1(VALU_DEP_1)
	v_div_fmas_f32 v2, v2, v3, v5
	v_div_fixup_f32 v10, v2, 0x40490fdb, v77
	v_mov_b32_e32 v2, v39
	s_delay_alu instid0(VALU_DEP_1) | instskip(SKIP_1) | instid1(VALU_DEP_1)
	v_pk_add_f32 v[2:3], v[38:39], v[2:3] neg_lo:[0,1] neg_hi:[0,1]
	v_mov_b32_e32 v3, v39
	v_pk_mul_f32 v[2:3], v[6:7], v[2:3]
	v_mov_b32_e32 v7, v29
	s_delay_alu instid0(VALU_DEP_2) | instskip(SKIP_1) | instid1(VALU_DEP_1)
	v_pk_mul_f32 v[52:53], v[2:3], v[0:1] op_sel_hi:[1,0]
	v_lshrrev_b32_e32 v0, 23, v12
	v_add_nc_u32_e32 v0, 0xffffff88, v0
	s_delay_alu instid0(VALU_DEP_1) | instskip(SKIP_1) | instid1(VALU_DEP_1)
	v_cmp_lt_u32_e32 vcc_lo, 63, v0
	v_cndmask_b32_e64 v2, 0, 0xffffffc0, vcc_lo
	v_add_nc_u32_e32 v0, v2, v0
	s_delay_alu instid0(VALU_DEP_1) | instskip(NEXT) | instid1(VALU_DEP_1)
	v_cmp_lt_u32_e64 s22, 31, v0
	v_cndmask_b32_e64 v2, 0, 0xffffffe0, s22
	s_delay_alu instid0(VALU_DEP_1) | instskip(NEXT) | instid1(VALU_DEP_1)
	v_add_nc_u32_e32 v0, v2, v0
	v_cmp_lt_u32_e64 s26, 31, v0
	s_delay_alu instid0(VALU_DEP_1) | instskip(NEXT) | instid1(VALU_DEP_1)
	v_cndmask_b32_e64 v2, 0, 0xffffffe0, s26
	v_add_nc_u32_e32 v0, v2, v0
	v_mul_u64_e32 v[2:3], s[34:35], v[28:29]
	s_delay_alu instid0(VALU_DEP_1) | instskip(NEXT) | instid1(VALU_DEP_1)
	v_mov_b32_e32 v6, v3
	v_mad_nc_u64_u32 v[6:7], 0x3c439041, v28, v[6:7]
	s_delay_alu instid0(VALU_DEP_1) | instskip(NEXT) | instid1(VALU_DEP_1)
	v_mov_b32_e32 v42, v7
	v_mad_nc_u64_u32 v[42:43], 0xdb629599, v28, v[42:43]
	s_delay_alu instid0(VALU_DEP_1) | instskip(SKIP_1) | instid1(VALU_DEP_3)
	v_mov_b32_e32 v54, v43
	v_cmp_eq_u32_e64 s27, 0, v0
	v_cndmask_b32_e32 v2, v42, v2, vcc_lo
	s_delay_alu instid0(VALU_DEP_3) | instskip(SKIP_1) | instid1(VALU_DEP_2)
	v_mad_nc_u64_u32 v[54:55], 0xf534ddc0, v28, v[54:55]
	v_dual_mov_b32 v115, v29 :: v_dual_sub_nc_u32 v0, 32, v0
	v_dual_cndmask_b32 v6, v54, v6, vcc_lo :: v_dual_mov_b32 v100, v55
	s_delay_alu instid0(VALU_DEP_1) | instskip(NEXT) | instid1(VALU_DEP_1)
	v_mad_nc_u64_u32 v[100:101], 0xfc2757d1, v28, v[100:101]
	v_mov_b32_e32 v114, v101
	s_delay_alu instid0(VALU_DEP_1) | instskip(NEXT) | instid1(VALU_DEP_1)
	v_mad_nc_u64_u32 v[114:115], 0x4e441529, v28, v[114:115]
	v_dual_mov_b32 v116, v115 :: v_dual_cndmask_b32 v3, v114, v54
	s_delay_alu instid0(VALU_DEP_1) | instskip(NEXT) | instid1(VALU_DEP_1)
	v_mad_nc_u64_u32 v[116:117], 0xa2f9836e, v28, v[116:117]
	v_dual_cndmask_b32 v4, v116, v100 :: v_dual_cndmask_b32 v7, v117, v114
	s_delay_alu instid0(VALU_DEP_1) | instskip(SKIP_1) | instid1(VALU_DEP_1)
	v_dual_cndmask_b32 v5, v4, v3, s22 :: v_dual_cndmask_b32 v4, v7, v4, s22
	v_cndmask_b32_e32 v7, v100, v42, vcc_lo
	v_dual_cndmask_b32 v4, v4, v5, s26 :: v_dual_cndmask_b32 v3, v3, v7, s22
	s_delay_alu instid0(VALU_DEP_1) | instskip(NEXT) | instid1(VALU_DEP_1)
	v_dual_cndmask_b32 v5, v5, v3, s26 :: v_dual_cndmask_b32 v7, v7, v6, s22
	v_alignbit_b32 v28, v4, v5, v0
	s_delay_alu instid0(VALU_DEP_1) | instskip(NEXT) | instid1(VALU_DEP_1)
	v_dual_cndmask_b32 v3, v3, v7, s26 :: v_dual_cndmask_b32 v4, v28, v4, s27
	v_alignbit_b32 v28, v5, v3, v0
	s_delay_alu instid0(VALU_DEP_2) | instskip(NEXT) | instid1(VALU_DEP_2)
	v_bfe_u32 v48, v4, 29, 1
	v_dual_cndmask_b32 v5, v28, v5, s27 :: v_dual_cndmask_b32 v2, v6, v2, s22
	v_cmp_class_f32_e64 s22, v74, 0x1f8
	s_delay_alu instid0(VALU_DEP_3) | instskip(NEXT) | instid1(VALU_DEP_3)
	v_sub_nc_u32_e32 v49, 0, v48
	v_alignbit_b32 v28, v4, v5, 30
	s_delay_alu instid0(VALU_DEP_4) | instskip(NEXT) | instid1(VALU_DEP_2)
	v_dual_cndmask_b32 v2, v7, v2, s26 :: v_dual_lshrrev_b32 v43, 29, v4
	v_xor_b32_e32 v28, v28, v49
	s_delay_alu instid0(VALU_DEP_2) | instskip(NEXT) | instid1(VALU_DEP_1)
	v_alignbit_b32 v0, v3, v2, v0
	v_cndmask_b32_e64 v0, v0, v3, s27
	s_delay_alu instid0(VALU_DEP_1) | instskip(NEXT) | instid1(VALU_DEP_4)
	v_alignbit_b32 v3, v5, v0, 30
	v_clz_i32_u32_e32 v5, v28
	s_delay_alu instid0(VALU_DEP_2) | instskip(NEXT) | instid1(VALU_DEP_2)
	v_xor_b32_e32 v3, v3, v49
	v_min_u32_e32 v5, 32, v5
	s_delay_alu instid0(VALU_DEP_1) | instskip(SKIP_1) | instid1(VALU_DEP_2)
	v_sub_nc_u32_e32 v6, 31, v5
	v_alignbit_b32 v0, v0, v2, 30
	v_alignbit_b32 v7, v28, v3, v6
	s_delay_alu instid0(VALU_DEP_2) | instskip(NEXT) | instid1(VALU_DEP_1)
	v_xor_b32_e32 v0, v0, v49
	v_alignbit_b32 v0, v3, v0, v6
	s_delay_alu instid0(VALU_DEP_1) | instskip(NEXT) | instid1(VALU_DEP_1)
	v_alignbit_b32 v2, v7, v0, 9
	v_clz_i32_u32_e32 v3, v2
	s_delay_alu instid0(VALU_DEP_1) | instskip(NEXT) | instid1(VALU_DEP_1)
	v_min_u32_e32 v3, 32, v3
	v_not_b32_e32 v6, v3
	v_add_lshl_u32 v3, v3, v5, 23
	s_delay_alu instid0(VALU_DEP_2) | instskip(SKIP_1) | instid1(VALU_DEP_2)
	v_alignbit_b32 v0, v2, v0, v6
	v_dual_mov_b32 v43, v29 :: v_dual_lshlrev_b32 v2, 31, v43
	v_lshrrev_b32_e32 v0, 9, v0
	s_delay_alu instid0(VALU_DEP_2) | instskip(NEXT) | instid1(VALU_DEP_1)
	v_or_b32_e32 v6, 0x33000000, v2
	v_dual_sub_nc_u32 v3, v6, v3 :: v_dual_bitop2_b32 v2, 0.5, v2 bitop3:0x54
	s_delay_alu instid0(VALU_DEP_1) | instskip(SKIP_1) | instid1(VALU_DEP_1)
	v_dual_lshrrev_b32 v3, 9, v7 :: v_dual_bitop2_b32 v0, v3, v0 bitop3:0x54
	v_lshlrev_b32_e32 v5, 23, v5
	v_sub_nc_u32_e32 v2, v2, v5
	s_delay_alu instid0(VALU_DEP_1) | instskip(NEXT) | instid1(VALU_DEP_1)
	v_or_b32_e32 v2, v3, v2
	v_mul_f32_e32 v3, 0x3fc90fda, v2
	s_delay_alu instid0(VALU_DEP_1) | instskip(NEXT) | instid1(VALU_DEP_1)
	v_fma_f32 v5, 0x3fc90fda, v2, -v3
	v_fmac_f32_e32 v5, 0x33a22168, v2
	s_delay_alu instid0(VALU_DEP_1) | instskip(NEXT) | instid1(VALU_DEP_1)
	v_fmac_f32_e32 v5, 0x3fc90fda, v0
	v_dual_add_f32 v97, v3, v5 :: v_dual_lshrrev_b32 v0, 30, v4
	s_delay_alu instid0(VALU_DEP_1) | instskip(SKIP_2) | instid1(VALU_DEP_2)
	v_add_nc_u32_e32 v101, v48, v0
	v_mul_f32_e64 v0, 0x3f22f983, |v74|
	v_mov_b64_e32 v[48:49], 0xbf2aaaaa31739010
	v_rndne_f32_e32 v0, v0
	s_delay_alu instid0(VALU_DEP_1) | instskip(SKIP_1) | instid1(VALU_DEP_2)
	v_fma_f32 v102, 0xbfc90fda, v0, |v74|
	v_cvt_i32_f32_e32 v106, v0
	v_fmac_f32_e32 v102, 0xb3a22168, v0
	s_delay_alu instid0(VALU_DEP_1) | instskip(SKIP_1) | instid1(VALU_DEP_1)
	v_fmac_f32_e32 v102, 0xa7c234c4, v0
	v_div_scale_f32 v0, null, v74, v74, v38
	v_rcp_f32_e32 v2, v0
	v_nop
	s_delay_alu instid0(TRANS32_DEP_1) | instskip(NEXT) | instid1(VALU_DEP_1)
	v_fma_f32 v3, -v0, v2, 1.0
	v_fmac_f32_e32 v2, v3, v2
	v_div_scale_f32 v3, vcc_lo, v38, v74, v38
	s_delay_alu instid0(VALU_DEP_1) | instskip(NEXT) | instid1(VALU_DEP_1)
	v_mul_f32_e32 v4, v3, v2
	v_fma_f32 v5, -v0, v4, v3
	s_delay_alu instid0(VALU_DEP_1) | instskip(NEXT) | instid1(VALU_DEP_1)
	v_fmac_f32_e32 v4, v5, v2
	v_fma_f32 v0, -v0, v4, v3
	s_delay_alu instid0(VALU_DEP_1) | instskip(NEXT) | instid1(VALU_DEP_1)
	v_div_fmas_f32 v0, v0, v2, v4
	v_div_fixup_f32 v50, v0, v74, v38
	v_div_scale_f32 v0, null, v74, v74, v39
	s_delay_alu instid0(VALU_DEP_1) | instskip(SKIP_1) | instid1(TRANS32_DEP_1)
	v_rcp_f32_e32 v2, v0
	v_nop
	v_fma_f32 v3, -v0, v2, 1.0
	s_delay_alu instid0(VALU_DEP_1) | instskip(SKIP_1) | instid1(VALU_DEP_1)
	v_fmac_f32_e32 v2, v3, v2
	v_div_scale_f32 v3, vcc_lo, v39, v74, v39
	v_mul_f32_e32 v4, v3, v2
	s_delay_alu instid0(VALU_DEP_1) | instskip(NEXT) | instid1(VALU_DEP_1)
	v_fma_f32 v5, -v0, v4, v3
	v_fmac_f32_e32 v4, v5, v2
	s_delay_alu instid0(VALU_DEP_1) | instskip(NEXT) | instid1(VALU_DEP_1)
	v_dual_fma_f32 v0, -v0, v4, v3 :: v_dual_cndmask_b32 v3, v33, v35, s4
	v_mul_f32_e32 v5, v3, v3
	s_delay_alu instid0(VALU_DEP_1) | instskip(SKIP_1) | instid1(VALU_DEP_2)
	v_fmaak_f32 v7, s56, v5, 0xbab64f3b
	v_fmaak_f32 v6, s54, v5, 0x3c0881c4
	;; [unrolled: 1-line block ×3, first 2 shown]
	v_div_fmas_f32 v0, v0, v2, v4
	s_delay_alu instid0(VALU_DEP_3) | instskip(SKIP_1) | instid1(VALU_DEP_4)
	v_fmaak_f32 v6, v5, v6, 0xbe2aaa9d
	v_cndmask_b32_e64 v4, v34, v27, s4
	v_fmaak_f32 v7, v5, v7, 0xbf000004
	s_delay_alu instid0(VALU_DEP_4) | instskip(SKIP_2) | instid1(VALU_DEP_4)
	v_div_fixup_f32 v114, v0, v74, v39
	v_lshlrev_b32_e32 v0, 30, v26
	v_mul_f32_e32 v6, v5, v6
	v_fma_f32 v7, v5, v7, 1.0
	s_delay_alu instid0(VALU_DEP_3) | instskip(NEXT) | instid1(VALU_DEP_3)
	v_and_b32_e32 v0, 0x80000000, v0
	v_fma_f32 v6, v3, v6, v3
	s_delay_alu instid0(VALU_DEP_2) | instskip(SKIP_1) | instid1(VALU_DEP_1)
	v_or_b32_e32 v2, v0, v18
	v_dual_lshlrev_b32 v4, 30, v4 :: v_dual_bitop2_b32 v18, 1, v4 bitop3:0x40
	v_cmp_eq_u32_e32 vcc_lo, 0, v18
	s_delay_alu instid0(VALU_DEP_4) | instskip(NEXT) | instid1(VALU_DEP_4)
	v_cndmask_b32_e64 v18, -v6, v7, vcc_lo
	v_xor_b32_e32 v2, v2, v38
	v_cndmask_b32_e32 v6, v7, v6, vcc_lo
	s_delay_alu instid0(VALU_DEP_3) | instskip(NEXT) | instid1(VALU_DEP_3)
	v_bitop3_b32 v18, v4, v18, 0x80000000 bitop3:0x6c
	v_xor_b32_e32 v2, v2, v22
	v_and_or_b32 v4, 0x80000000, v4, v14
	s_delay_alu instid0(VALU_DEP_3) | instskip(NEXT) | instid1(VALU_DEP_3)
	v_cndmask_b32_e64 v18, 0x7fc00000, v18, s7
	v_cndmask_b32_e64 v116, 0x7fc00000, v2, s6
	s_delay_alu instid0(VALU_DEP_3) | instskip(NEXT) | instid1(VALU_DEP_2)
	v_xor_b32_e32 v4, v4, v6
	v_div_scale_f32 v2, null, v18, v18, v116
	s_delay_alu instid0(VALU_DEP_1) | instskip(SKIP_1) | instid1(TRANS32_DEP_1)
	v_rcp_f32_e32 v6, v2
	v_nop
	v_fma_f32 v7, -v2, v6, 1.0
	s_delay_alu instid0(VALU_DEP_1) | instskip(SKIP_2) | instid1(VALU_DEP_2)
	v_fmac_f32_e32 v6, v7, v6
	v_div_scale_f32 v7, vcc_lo, v116, v18, v116
	v_xor_b32_e32 v0, v0, v19
	v_dual_mul_f32 v19, v7, v6 :: v_dual_bitop2_b32 v4, v4, v39 bitop3:0x14
	s_delay_alu instid0(VALU_DEP_1) | instskip(SKIP_1) | instid1(VALU_DEP_3)
	v_cndmask_b32_e64 v115, 0x7fc00000, v4, s7
	v_cndmask_b32_e64 v55, 0x7fc00000, v4, s7
	v_fma_f32 v22, -v2, v19, v7
	v_cndmask_b32_e64 v54, 0x7fc00000, v0, s6
	s_delay_alu instid0(VALU_DEP_2) | instskip(NEXT) | instid1(VALU_DEP_1)
	v_fmac_f32_e32 v19, v22, v6
	v_fma_f32 v2, -v2, v19, v7
	v_fmaak_f32 v7, s53, v5, 0xbf039337
	s_delay_alu instid0(VALU_DEP_2) | instskip(NEXT) | instid1(VALU_DEP_2)
	v_div_fmas_f32 v2, v2, v6, v19
	v_fmaak_f32 v7, v5, v7, 0x3f93f425
	v_fmaak_f32 v6, s58, v5, 0x3ec54587
	s_delay_alu instid0(VALU_DEP_3) | instskip(NEXT) | instid1(VALU_DEP_3)
	v_div_fixup_f32 v117, v2, v18, v116
	v_rcp_f32_e32 v7, v7
	v_cndmask_b32_e64 v2, v32, v27, s4
	s_delay_alu instid0(TRANS32_DEP_1) | instid1(VALU_DEP_1)
	v_dual_mul_f32 v6, v6, v7 :: v_dual_bitop2_b32 v2, 1, v2 bitop3:0x40
	s_delay_alu instid0(VALU_DEP_1) | instskip(NEXT) | instid1(VALU_DEP_2)
	v_cmp_eq_u32_e32 vcc_lo, 0, v2
	v_mul_f32_e32 v5, v5, v6
	s_delay_alu instid0(VALU_DEP_1) | instskip(NEXT) | instid1(VALU_DEP_1)
	v_fma_f32 v6, v5, v3, v3
	v_sub_f32_e32 v7, v6, v3
	s_delay_alu instid0(VALU_DEP_1) | instskip(SKIP_2) | instid1(TRANS32_DEP_1)
	v_fma_f32 v3, v5, v3, -v7
	v_rcp_f32_e32 v5, v6
	v_nop
	v_fma_f32 v7, v6, -v5, 1.0
	s_delay_alu instid0(VALU_DEP_1) | instskip(NEXT) | instid1(VALU_DEP_1)
	v_fma_f32 v3, v3, -v5, v7
	v_fma_f32 v3, v3, -v5, -v5
	s_delay_alu instid0(VALU_DEP_1) | instskip(SKIP_1) | instid1(VALU_DEP_2)
	v_cndmask_b32_e32 v2, v3, v6, vcc_lo
	v_cndmask_b32_e64 v6, v123, v125, s24
	v_xor3_b32 v2, v39, v2, v14
	s_delay_alu instid0(VALU_DEP_1) | instskip(SKIP_1) | instid1(VALU_DEP_1)
	v_cndmask_b32_e64 v118, 0x7fc00000, v2, s7
	v_dual_cndmask_b32 v2, v60, v66, s8 :: v_dual_cndmask_b32 v0, v59, v61, s8
	v_mul_f32_e32 v3, v0, v0
	s_delay_alu instid0(VALU_DEP_1) | instskip(NEXT) | instid1(VALU_DEP_1)
	v_fmaak_f32 v4, s54, v3, 0x3c0881c4
	v_fmaak_f32 v4, v3, v4, 0xbe2aaa9d
	s_delay_alu instid0(VALU_DEP_1) | instskip(NEXT) | instid1(VALU_DEP_1)
	v_mul_f32_e32 v4, v3, v4
	v_fmac_f32_e32 v0, v0, v4
	v_fmaak_f32 v4, s56, v3, 0xbab64f3b
	s_delay_alu instid0(VALU_DEP_1) | instskip(NEXT) | instid1(VALU_DEP_1)
	v_fmaak_f32 v4, v3, v4, 0x3d2aabf7
	v_fmaak_f32 v4, v3, v4, 0xbf000004
	s_delay_alu instid0(VALU_DEP_1) | instskip(SKIP_1) | instid1(VALU_DEP_1)
	v_fma_f32 v3, v3, v4, 1.0
	v_dual_lshlrev_b32 v2, 30, v2 :: v_dual_bitop2_b32 v4, 1, v2 bitop3:0x40
	v_cmp_eq_u32_e32 vcc_lo, 0, v4
	s_delay_alu instid0(VALU_DEP_2) | instskip(NEXT) | instid1(VALU_DEP_4)
	v_and_b32_e32 v5, 0x80000000, v2
	v_dual_cndmask_b32 v4, -v0, v3, vcc_lo :: v_dual_cndmask_b32 v0, v3, v0, vcc_lo
	s_delay_alu instid0(VALU_DEP_1) | instskip(NEXT) | instid1(VALU_DEP_2)
	v_xor_b32_e32 v3, v5, v4
	v_xor3_b32 v2, v0, v77, v58
	v_cndmask_b32_e64 v4, v79, v124, s24
	s_delay_alu instid0(VALU_DEP_3) | instskip(NEXT) | instid1(VALU_DEP_2)
	v_cndmask_b32_e64 v79, 0x7fc00000, v3, s25
	v_dual_mul_f32 v7, v4, v4 :: v_dual_bitop2_b32 v2, v5, v2 bitop3:0x14
	s_delay_alu instid0(VALU_DEP_2) | instskip(NEXT) | instid1(VALU_DEP_2)
	v_mov_b32_e32 v66, v79
	v_fmaak_f32 v14, s54, v7, 0x3c0881c4
	s_delay_alu instid0(VALU_DEP_1) | instskip(NEXT) | instid1(VALU_DEP_1)
	v_fmaak_f32 v14, v7, v14, 0xbe2aaa9d
	v_mul_f32_e32 v14, v7, v14
	s_delay_alu instid0(VALU_DEP_1) | instskip(SKIP_1) | instid1(VALU_DEP_1)
	v_fmac_f32_e32 v4, v4, v14
	v_fmaak_f32 v14, s56, v7, 0xbab64f3b
	v_fmaak_f32 v14, v7, v14, 0x3d2aabf7
	s_delay_alu instid0(VALU_DEP_1) | instskip(NEXT) | instid1(VALU_DEP_1)
	v_fmaak_f32 v14, v7, v14, 0xbf000004
	v_fma_f32 v7, v7, v14, 1.0
	v_dual_lshlrev_b32 v6, 30, v6 :: v_dual_bitop2_b32 v14, 1, v6 bitop3:0x40
	s_delay_alu instid0(VALU_DEP_1) | instskip(NEXT) | instid1(VALU_DEP_2)
	v_cmp_eq_u32_e32 vcc_lo, 0, v14
	v_and_b32_e32 v6, 0x80000000, v6
	s_delay_alu instid0(VALU_DEP_4) | instskip(NEXT) | instid1(VALU_DEP_1)
	v_dual_cndmask_b32 v18, -v4, v7, vcc_lo :: v_dual_cndmask_b32 v4, v7, v4, vcc_lo
	v_xor_b32_e32 v28, v6, v18
	s_delay_alu instid0(VALU_DEP_2) | instskip(SKIP_2) | instid1(VALU_DEP_3)
	v_xor3_b32 v4, v40, v4, v78
	v_cndmask_b32_e64 v78, 0x7fc00000, v2, s25
	v_cndmask_b32_e64 v2, v72, v80, s13
	v_xor_b32_e32 v14, v6, v4
	v_dual_cndmask_b32 v4, v73, v76, s13 :: v_dual_mov_b32 v76, v40
	s_delay_alu instid0(VALU_DEP_1) | instskip(NEXT) | instid1(VALU_DEP_1)
	v_mul_f32_e32 v3, v4, v4
	v_fmaak_f32 v6, s54, v3, 0x3c0881c4
	s_delay_alu instid0(VALU_DEP_1) | instskip(NEXT) | instid1(VALU_DEP_1)
	v_fmaak_f32 v6, v3, v6, 0xbe2aaa9d
	v_mul_f32_e32 v6, v3, v6
	s_delay_alu instid0(VALU_DEP_1) | instskip(SKIP_1) | instid1(VALU_DEP_1)
	v_fmac_f32_e32 v4, v4, v6
	v_fmaak_f32 v6, s56, v3, 0xbab64f3b
	v_fmaak_f32 v6, v3, v6, 0x3d2aabf7
	s_delay_alu instid0(VALU_DEP_1) | instskip(NEXT) | instid1(VALU_DEP_1)
	v_fmaak_f32 v6, v3, v6, 0xbf000004
	v_fma_f32 v3, v3, v6, 1.0
	v_dual_lshlrev_b32 v2, 30, v2 :: v_dual_bitop2_b32 v6, 1, v2 bitop3:0x40
	s_delay_alu instid0(VALU_DEP_1) | instskip(NEXT) | instid1(VALU_DEP_2)
	v_cmp_eq_u32_e32 vcc_lo, 0, v6
	v_and_b32_e32 v7, 0x80000000, v2
	s_delay_alu instid0(VALU_DEP_4) | instskip(SKIP_1) | instid1(VALU_DEP_2)
	v_dual_cndmask_b32 v6, -v4, v3, vcc_lo :: v_dual_cndmask_b32 v3, v3, v4, vcc_lo
	v_cmp_neq_f32_e32 vcc_lo, 1.0, v40
	v_bitop3_b32 v2, v2, v6, 0x80000000 bitop3:0x6c
	s_delay_alu instid0(VALU_DEP_3) | instskip(SKIP_2) | instid1(VALU_DEP_4)
	v_xor_b32_e32 v3, v67, v3
	v_cndmask_b32_e64 v67, 0x7fc00000, v28, s12
	v_and_or_b32 v28, v62, s49, 0x800000
	v_cndmask_b32_e64 v2, 0x7fc00000, v2, s15
	s_delay_alu instid0(VALU_DEP_4) | instskip(NEXT) | instid1(VALU_DEP_1)
	v_xor3_b32 v3, v3, v69, v7
	v_cndmask_b32_e64 v3, 0xffc00000, -v3, s15
	s_delay_alu instid0(VALU_DEP_1) | instskip(SKIP_1) | instid1(VALU_DEP_1)
	v_pk_mul_f32 v[56:57], v[2:3], v[56:57]
	v_or_b32_e32 v2, v5, v58
	v_xor3_b32 v0, v2, v77, v0
	s_delay_alu instid0(VALU_DEP_1) | instskip(NEXT) | instid1(VALU_DEP_1)
	v_cndmask_b32_e64 v59, 0x7fc00000, v0, s25
	v_cndmask_b32_e32 v5, 1.0, v59, vcc_lo
	s_delay_alu instid0(VALU_DEP_1) | instskip(SKIP_2) | instid1(VALU_DEP_1)
	v_cmp_neq_f32_e32 vcc_lo, 0, v5
	v_cmp_neq_f32_e64 s5, v5, |v5|
	v_cndmask_b32_e32 v42, 1.0, v40, vcc_lo
	v_frexp_mant_f32_e64 v0, |v42|
	v_cmp_lt_f32_e64 s6, |v42|, 1.0
	s_delay_alu instid0(VALU_DEP_2) | instskip(SKIP_3) | instid1(VALU_DEP_1)
	v_cmp_gt_f32_e32 vcc_lo, 0x3f2aaaab, v0
	s_xor_b32 s5, s5, s6
	v_cmp_gt_f32_e64 s6, 0, v5
	v_cndmask_b32_e64 v2, 1.0, 2.0, vcc_lo
	v_mul_f32_e32 v0, v0, v2
	s_delay_alu instid0(VALU_DEP_1) | instskip(NEXT) | instid1(VALU_DEP_1)
	v_add_f32_e32 v2, 1.0, v0
	v_add_f32_e32 v3, -1.0, v2
	v_rcp_f32_e32 v26, v2
	s_delay_alu instid0(VALU_DEP_1)
	v_dual_sub_f32 v4, v0, v3 :: v_dual_add_f32 v3, -1.0, v0
	s_delay_alu instid0(TRANS32_DEP_1) | instid1(VALU_DEP_1)
	v_mul_f32_e32 v0, v3, v26
	s_delay_alu instid0(VALU_DEP_1) | instskip(NEXT) | instid1(VALU_DEP_1)
	v_mul_f32_e32 v6, v2, v0
	v_fma_f32 v18, v0, v2, -v6
	s_delay_alu instid0(VALU_DEP_1) | instskip(NEXT) | instid1(VALU_DEP_1)
	v_fmac_f32_e32 v18, v0, v4
	v_add_f32_e32 v2, v6, v18
	s_delay_alu instid0(VALU_DEP_1) | instskip(NEXT) | instid1(VALU_DEP_1)
	v_dual_sub_f32 v7, v3, v2 :: v_dual_mov_b32 v19, v2
	v_pk_add_f32 v[22:23], v[2:3], v[6:7] neg_lo:[0,1] neg_hi:[0,1]
	s_delay_alu instid0(VALU_DEP_1) | instskip(NEXT) | instid1(VALU_DEP_1)
	v_pk_add_f32 v[2:3], v[22:23], v[18:19] neg_lo:[0,1] neg_hi:[0,1]
	v_add_f32_e32 v2, v2, v3
	s_delay_alu instid0(VALU_DEP_1) | instskip(NEXT) | instid1(VALU_DEP_1)
	v_add_f32_e32 v2, v7, v2
	v_mul_f32_e32 v3, v26, v2
	s_delay_alu instid0(VALU_DEP_1) | instskip(NEXT) | instid1(VALU_DEP_1)
	v_add_f32_e32 v2, v0, v3
	v_sub_f32_e32 v0, v2, v0
	s_delay_alu instid0(VALU_DEP_1) | instskip(NEXT) | instid1(VALU_DEP_1)
	v_dual_sub_f32 v4, v3, v0 :: v_dual_mul_f32 v0, v2, v2
	v_dual_add_f32 v6, v4, v4 :: v_dual_fma_f32 v3, v2, v2, -v0
	s_delay_alu instid0(VALU_DEP_1) | instskip(NEXT) | instid1(VALU_DEP_1)
	v_fmac_f32_e32 v3, v2, v6
	v_add_f32_e32 v6, v0, v3
	s_delay_alu instid0(VALU_DEP_1) | instskip(NEXT) | instid1(VALU_DEP_1)
	v_sub_f32_e32 v0, v6, v0
	v_dual_sub_f32 v0, v3, v0 :: v_dual_fmaak_f32 v7, s55, v6, 0x3e91f4c4
	s_delay_alu instid0(VALU_DEP_1) | instskip(NEXT) | instid1(VALU_DEP_1)
	v_fmaak_f32 v7, v6, v7, 0x3ecccdef
	v_mul_f32_e32 v3, v6, v7
	s_delay_alu instid0(VALU_DEP_1) | instskip(NEXT) | instid1(VALU_DEP_1)
	v_fma_f32 v18, v6, v7, -v3
	v_fmac_f32_e32 v18, v0, v7
	s_delay_alu instid0(VALU_DEP_1) | instskip(NEXT) | instid1(VALU_DEP_1)
	v_add_f32_e32 v7, v3, v18
	v_add_f32_e32 v19, 0x3f2aaaaa, v7
	v_sub_f32_e32 v3, v7, v3
	s_delay_alu instid0(VALU_DEP_1) | instskip(NEXT) | instid1(VALU_DEP_3)
	v_sub_f32_e32 v3, v18, v3
	v_add_f32_e32 v18, 0xbf2aaaaa, v19
	s_delay_alu instid0(VALU_DEP_2) | instskip(NEXT) | instid1(VALU_DEP_2)
	v_add_f32_e32 v3, 0x31739010, v3
	v_sub_f32_e32 v7, v7, v18
	s_delay_alu instid0(VALU_DEP_1) | instskip(SKIP_1) | instid1(VALU_DEP_1)
	v_pk_mul_f32 v[22:23], v[2:3], v[6:7]
	v_pk_add_f32 v[26:27], v[2:3], v[6:7]
	v_dual_fma_f32 v18, v6, v2, -v22 :: v_dual_mov_b32 v23, v27
	s_delay_alu instid0(VALU_DEP_1) | instskip(NEXT) | instid1(VALU_DEP_1)
	v_fmac_f32_e32 v18, v6, v4
	v_fmac_f32_e32 v18, v0, v2
	s_delay_alu instid0(VALU_DEP_1) | instskip(NEXT) | instid1(VALU_DEP_1)
	v_pk_add_f32 v[6:7], v[22:23], v[18:19]
	v_sub_f32_e32 v0, v6, v22
	s_delay_alu instid0(VALU_DEP_1) | instskip(NEXT) | instid1(VALU_DEP_1)
	v_dual_sub_f32 v3, v18, v0 :: v_dual_sub_f32 v0, v19, v7
	v_add_f32_e32 v23, v27, v0
	v_mov_b32_e32 v0, v7
	v_ldexp_f32 v27, v2, 1
	s_delay_alu instid0(VALU_DEP_2) | instskip(NEXT) | instid1(VALU_DEP_1)
	v_pk_mul_f32 v[18:19], v[6:7], v[0:1]
	v_dual_mov_b32 v19, v27 :: v_dual_fma_f32 v22, v6, v7, -v18
	s_delay_alu instid0(VALU_DEP_1) | instskip(NEXT) | instid1(VALU_DEP_1)
	v_fmac_f32_e32 v22, v6, v23
	v_fmac_f32_e32 v22, v3, v7
	v_cvt_f64_f32_e64 v[6:7], |v42|
	s_delay_alu instid0(VALU_DEP_1) | instskip(NEXT) | instid1(VALU_DEP_3)
	v_frexp_exp_i32_f64_e32 v0, v[6:7]
	v_add_f32_e32 v7, v18, v22
	s_delay_alu instid0(VALU_DEP_1) | instskip(NEXT) | instid1(VALU_DEP_3)
	v_dual_mov_b32 v32, v7 :: v_dual_mov_b32 v23, v7
	v_subrev_co_ci_u32_e64 v0, null, 0, v0, vcc_lo
	s_delay_alu instid0(VALU_DEP_1) | instskip(NEXT) | instid1(VALU_DEP_1)
	v_cvt_f32_i32_e32 v0, v0
	v_mul_f32_e32 v6, 0x3f317218, v0
	s_delay_alu instid0(VALU_DEP_1) | instskip(NEXT) | instid1(VALU_DEP_1)
	v_fma_f32 v26, 0x3f317218, v0, -v6
	v_fmac_f32_e32 v26, 0xb102e308, v0
	v_ldexp_f32 v0, v4, 1
	s_delay_alu instid0(VALU_DEP_2) | instskip(NEXT) | instid1(VALU_DEP_1)
	v_pk_add_f32 v[2:3], v[6:7], v[26:27]
	v_dual_mov_b32 v33, v3 :: v_dual_mov_b32 v27, v2
	s_delay_alu instid0(VALU_DEP_1) | instskip(NEXT) | instid1(VALU_DEP_1)
	v_pk_add_f32 v[18:19], v[32:33], v[18:19] neg_lo:[0,1] neg_hi:[0,1]
	v_pk_add_f32 v[18:19], v[22:23], v[18:19] neg_lo:[0,1] neg_hi:[0,1]
	s_delay_alu instid0(VALU_DEP_1) | instskip(NEXT) | instid1(VALU_DEP_1)
	v_add_f32_e32 v0, v0, v18
	v_add_f32_e32 v7, v0, v19
	s_delay_alu instid0(VALU_DEP_1) | instskip(SKIP_1) | instid1(VALU_DEP_2)
	v_pk_add_f32 v[22:23], v[2:3], v[6:7]
	v_pk_add_f32 v[18:19], v[2:3], v[6:7] neg_lo:[0,1] neg_hi:[0,1]
	v_dual_mov_b32 v19, v23 :: v_dual_mov_b32 v6, v7
	s_delay_alu instid0(VALU_DEP_1) | instskip(SKIP_2) | instid1(VALU_DEP_2)
	v_pk_add_f32 v[32:33], v[26:27], v[18:19] neg_lo:[0,1] neg_hi:[0,1]
	v_pk_add_f32 v[18:19], v[26:27], v[18:19]
	v_dual_mov_b32 v18, v23 :: v_dual_mov_b32 v7, v2
	v_dual_mov_b32 v0, v19 :: v_dual_mov_b32 v33, v19
	s_delay_alu instid0(VALU_DEP_1) | instskip(NEXT) | instid1(VALU_DEP_1)
	v_pk_add_f32 v[26:27], v[0:1], v[2:3] neg_lo:[0,1] neg_hi:[0,1]
	v_mov_b32_e32 v27, v26
	s_delay_alu instid0(VALU_DEP_1) | instskip(SKIP_2) | instid1(VALU_DEP_2)
	v_pk_add_f32 v[34:35], v[22:23], v[26:27] neg_lo:[0,1] neg_hi:[0,1]
	v_dual_mov_b32 v22, v3 :: v_dual_mov_b32 v23, v26
	v_mov_b32_e32 v34, v32
	v_pk_add_f32 v[18:19], v[18:19], v[22:23] neg_lo:[0,1] neg_hi:[0,1]
	s_delay_alu instid0(VALU_DEP_1) | instskip(NEXT) | instid1(VALU_DEP_1)
	v_pk_add_f32 v[2:3], v[6:7], v[18:19] neg_lo:[0,1] neg_hi:[0,1]
	v_pk_add_f32 v[6:7], v[34:35], v[2:3]
	s_delay_alu instid0(VALU_DEP_1) | instskip(NEXT) | instid1(VALU_DEP_1)
	v_dual_mov_b32 v35, v29 :: v_dual_mov_b32 v4, v7
	v_pk_add_f32 v[18:19], v[6:7], v[4:5]
	s_delay_alu instid0(VALU_DEP_1) | instskip(NEXT) | instid1(VALU_DEP_1)
	v_pk_add_f32 v[22:23], v[0:1], v[18:19]
	v_mov_b32_e32 v7, v22
	s_delay_alu instid0(VALU_DEP_1) | instskip(SKIP_1) | instid1(VALU_DEP_2)
	v_pk_add_f32 v[26:27], v[6:7], v[32:33] neg_lo:[0,1] neg_hi:[0,1]
	v_dual_mov_b32 v7, v29 :: v_dual_mov_b32 v33, v29
	v_sub_f32_e32 v0, v6, v26
	s_delay_alu instid0(VALU_DEP_1) | instskip(NEXT) | instid1(VALU_DEP_1)
	v_dual_mov_b32 v3, v18 :: v_dual_sub_f32 v0, v32, v0
	v_pk_add_f32 v[2:3], v[2:3], v[26:27] neg_lo:[0,1] neg_hi:[0,1]
	s_delay_alu instid0(VALU_DEP_1) | instskip(NEXT) | instid1(VALU_DEP_1)
	v_dual_mov_b32 v27, v29 :: v_dual_add_f32 v0, v2, v0
	v_add_f32_e32 v0, v0, v3
	s_delay_alu instid0(VALU_DEP_1) | instskip(NEXT) | instid1(VALU_DEP_1)
	v_add_f32_e32 v2, v22, v0
	v_sub_f32_e32 v3, v2, v22
	s_delay_alu instid0(VALU_DEP_1) | instskip(NEXT) | instid1(VALU_DEP_1)
	v_dual_sub_f32 v0, v0, v3 :: v_dual_mul_f32 v3, v5, v2
	v_fma_f32 v2, v5, v2, -v3
	v_cmp_class_f32_e64 vcc_lo, v3, 0x204
	s_delay_alu instid0(VALU_DEP_2) | instskip(NEXT) | instid1(VALU_DEP_1)
	v_fmac_f32_e32 v2, v5, v0
	v_add_f32_e32 v0, v3, v2
	s_delay_alu instid0(VALU_DEP_1) | instskip(NEXT) | instid1(VALU_DEP_1)
	v_dual_sub_f32 v4, v0, v3 :: v_dual_cndmask_b32 v0, v0, v3, vcc_lo
	v_sub_f32_e32 v2, v2, v4
	s_delay_alu instid0(VALU_DEP_2) | instskip(NEXT) | instid1(VALU_DEP_2)
	v_cmp_neq_f32_e64 vcc_lo, 0x7f800000, |v0|
	v_cndmask_b32_e32 v2, 0, v2, vcc_lo
	v_cmp_eq_f32_e32 vcc_lo, 0x42b17218, v0
	s_delay_alu instid0(VALU_DEP_3) | instskip(NEXT) | instid1(VALU_DEP_1)
	v_cndmask_b32_e64 v3, 0, 0x37000000, vcc_lo
	v_dual_sub_f32 v0, v0, v3 :: v_dual_add_f32 v2, v3, v2
	s_delay_alu instid0(VALU_DEP_1) | instskip(SKIP_1) | instid1(VALU_DEP_2)
	v_mul_f32_e32 v3, 0x3fb8aa3b, v0
	v_cmp_ngt_f32_e32 vcc_lo, 0xc2ce8ed0, v0
	v_fma_f32 v4, 0x3fb8aa3b, v0, -v3
	v_rndne_f32_e32 v6, v3
	s_delay_alu instid0(VALU_DEP_1) | instskip(NEXT) | instid1(VALU_DEP_1)
	v_dual_fmac_f32 v4, 0x32a5705f, v0 :: v_dual_sub_f32 v3, v3, v6
	v_add_f32_e32 v3, v3, v4
	v_cvt_i32_f32_e32 v4, v6
	s_delay_alu instid0(VALU_DEP_2) | instskip(SKIP_1) | instid1(TRANS32_DEP_1)
	v_exp_f32_e32 v3, v3
	v_nop
	v_ldexp_f32 v3, v3, v4
	s_delay_alu instid0(VALU_DEP_1) | instskip(SKIP_1) | instid1(VALU_DEP_2)
	v_cndmask_b32_e32 v3, 0, v3, vcc_lo
	v_cmp_nlt_f32_e32 vcc_lo, 0x42b17218, v0
	v_cndmask_b32_e32 v0, 0x7f800000, v3, vcc_lo
	s_delay_alu instid0(VALU_DEP_1) | instskip(SKIP_1) | instid1(VALU_DEP_2)
	v_fma_f32 v2, v0, v2, v0
	v_cmp_class_f32_e64 vcc_lo, v0, 0x204
	v_cndmask_b32_e32 v0, v2, v0, vcc_lo
	v_trunc_f32_e32 v2, v5
	s_delay_alu instid0(VALU_DEP_1) | instskip(SKIP_1) | instid1(VALU_DEP_1)
	v_cmp_eq_f32_e32 vcc_lo, v2, v5
	v_mul_f32_e32 v2, 0.5, v5
	v_trunc_f32_e32 v3, v2
	s_delay_alu instid0(VALU_DEP_1) | instskip(SKIP_4) | instid1(VALU_DEP_2)
	v_cmp_neq_f32_e64 s4, v3, v2
	s_and_b32 vcc_lo, vcc_lo, s4
	v_cmp_class_f32_e64 s4, v5, 0x204
	v_dual_cndmask_b32 v2, 1.0, v42 :: v_dual_cndmask_b32 v3, 0, v42
	v_cmp_o_f32_e32 vcc_lo, v42, v5
	v_bfi_b32 v0, 0x7fffffff, v0, v2
	v_cndmask_b32_e64 v2, 0x7f800000, 0, s5
	v_cmp_neq_f32_e64 s5, |v42|, 1.0
	s_delay_alu instid0(VALU_DEP_1) | instskip(SKIP_1) | instid1(VALU_DEP_2)
	v_cndmask_b32_e64 v2, 1.0, v2, s5
	v_cmp_class_f32_e64 s5, v42, 0x204
	v_cndmask_b32_e64 v0, v0, v2, s4
	v_cmp_eq_f32_e64 s4, 0, v42
	s_or_b32 s5, s4, s5
	s_xor_b32 s4, s6, s4
	s_delay_alu instid0(SALU_CYCLE_1) | instskip(NEXT) | instid1(VALU_DEP_1)
	v_cndmask_b32_e64 v2, 0x7f800000, 0, s4
	v_bfi_b32 v2, 0x7fffffff, v2, v3
	s_delay_alu instid0(VALU_DEP_1) | instskip(NEXT) | instid1(VALU_DEP_1)
	v_dual_cndmask_b32 v0, v0, v2, s5 :: v_dual_mov_b32 v2, v79
	v_cndmask_b32_e32 v3, 0x7fc00000, v0, vcc_lo
	v_cndmask_b32_e64 v0, v93, v95, s19
	s_delay_alu instid0(VALU_DEP_2) | instskip(NEXT) | instid1(VALU_DEP_1)
	v_dual_mov_b32 v95, v29 :: v_dual_mov_b32 v58, v3
	v_pk_mul_f32 v[58:59], v[2:3], v[58:59]
	v_cndmask_b32_e64 v2, v94, v96, s19
	s_delay_alu instid0(VALU_DEP_4) | instskip(NEXT) | instid1(VALU_DEP_1)
	v_mul_f32_e32 v3, v0, v0
	v_fmaak_f32 v4, s54, v3, 0x3c0881c4
	s_delay_alu instid0(VALU_DEP_1) | instskip(NEXT) | instid1(VALU_DEP_1)
	v_fmaak_f32 v4, v3, v4, 0xbe2aaa9d
	v_mul_f32_e32 v4, v3, v4
	s_delay_alu instid0(VALU_DEP_1) | instskip(SKIP_1) | instid1(VALU_DEP_1)
	v_fmac_f32_e32 v0, v0, v4
	v_fmaak_f32 v4, s56, v3, 0xbab64f3b
	v_fmaak_f32 v4, v3, v4, 0x3d2aabf7
	s_delay_alu instid0(VALU_DEP_1) | instskip(NEXT) | instid1(VALU_DEP_1)
	v_fmaak_f32 v4, v3, v4, 0xbf000004
	v_fma_f32 v3, v3, v4, 1.0
	v_dual_lshlrev_b32 v2, 30, v2 :: v_dual_bitop2_b32 v4, 1, v2 bitop3:0x40
	s_delay_alu instid0(VALU_DEP_1) | instskip(NEXT) | instid1(VALU_DEP_2)
	v_cmp_eq_u32_e32 vcc_lo, 0, v4
	v_and_b32_e32 v2, 0x80000000, v2
	s_delay_alu instid0(VALU_DEP_4) | instskip(NEXT) | instid1(VALU_DEP_1)
	v_dual_cndmask_b32 v4, -v0, v3, vcc_lo :: v_dual_cndmask_b32 v0, v3, v0, vcc_lo
	v_xor3_b32 v0, v91, v0, v92
	s_delay_alu instid0(VALU_DEP_1) | instskip(NEXT) | instid1(VALU_DEP_3)
	v_xor_b32_e32 v0, v2, v0
	v_xor_b32_e32 v2, v2, v4
	s_delay_alu instid0(VALU_DEP_2) | instskip(NEXT) | instid1(VALU_DEP_2)
	v_cndmask_b32_e64 v3, 0x7fc00000, v0, s21
	v_cndmask_b32_e64 v2, 0x7fc00000, v2, s21
	;; [unrolled: 1-line block ×3, first 2 shown]
	s_delay_alu instid0(VALU_DEP_2) | instskip(SKIP_1) | instid1(VALU_DEP_1)
	v_pk_mul_f32 v[60:61], v[16:17], v[2:3] op_sel_hi:[0,1]
	v_dual_cndmask_b32 v16, v119, v121, s23 :: v_dual_mul_f32 v119, v40, v79
	v_mul_f32_e32 v2, v16, v16
	s_delay_alu instid0(VALU_DEP_1) | instskip(NEXT) | instid1(VALU_DEP_1)
	v_fmaak_f32 v3, s54, v2, 0x3c0881c4
	v_fmaak_f32 v3, v2, v3, 0xbe2aaa9d
	s_delay_alu instid0(VALU_DEP_1) | instskip(NEXT) | instid1(VALU_DEP_1)
	v_mul_f32_e32 v3, v2, v3
	v_dual_fmac_f32 v16, v16, v3 :: v_dual_fmaak_f32 v3, s56, v2, 0xbab64f3b
	s_delay_alu instid0(VALU_DEP_1) | instskip(NEXT) | instid1(VALU_DEP_1)
	v_fmaak_f32 v3, v2, v3, 0x3d2aabf7
	v_fmaak_f32 v3, v2, v3, 0xbf000004
	s_delay_alu instid0(VALU_DEP_1) | instskip(SKIP_1) | instid1(VALU_DEP_1)
	v_fma_f32 v18, v2, v3, 1.0
	v_dual_lshlrev_b32 v0, 30, v0 :: v_dual_bitop2_b32 v2, 1, v0 bitop3:0x40
	v_cmp_eq_u32_e32 vcc_lo, 0, v2
	v_lshrrev_b32_e32 v2, 23, v62
	s_delay_alu instid0(VALU_DEP_3) | instskip(NEXT) | instid1(VALU_DEP_2)
	v_and_b32_e32 v19, 0x80000000, v0
	v_add_nc_u32_e32 v2, 0xffffff88, v2
	s_delay_alu instid0(VALU_DEP_1) | instskip(NEXT) | instid1(VALU_DEP_1)
	v_cmp_lt_u32_e64 s4, 63, v2
	v_cndmask_b32_e64 v3, 0, 0xffffffc0, s4
	s_delay_alu instid0(VALU_DEP_1) | instskip(NEXT) | instid1(VALU_DEP_1)
	v_add_nc_u32_e32 v2, v3, v2
	v_cmp_lt_u32_e64 s5, 31, v2
	s_delay_alu instid0(VALU_DEP_1) | instskip(NEXT) | instid1(VALU_DEP_1)
	v_cndmask_b32_e64 v3, 0, 0xffffffe0, s5
	v_add_nc_u32_e32 v2, v3, v2
	s_delay_alu instid0(VALU_DEP_1) | instskip(NEXT) | instid1(VALU_DEP_1)
	v_cmp_lt_u32_e64 s6, 31, v2
	v_cndmask_b32_e64 v3, 0, 0xffffffe0, s6
	s_delay_alu instid0(VALU_DEP_1) | instskip(SKIP_2) | instid1(VALU_DEP_3)
	v_add_nc_u32_e32 v22, v3, v2
	v_mul_u64_e32 v[2:3], s[34:35], v[28:29]
	v_cndmask_b32_e64 v0, -v16, v18, vcc_lo
	v_cmp_eq_u32_e64 s7, 0, v22
	s_delay_alu instid0(VALU_DEP_3) | instskip(NEXT) | instid1(VALU_DEP_3)
	v_dual_sub_nc_u32 v22, 32, v22 :: v_dual_mov_b32 v6, v3
	v_xor_b32_e32 v0, v19, v0
	s_delay_alu instid0(VALU_DEP_2) | instskip(NEXT) | instid1(VALU_DEP_1)
	v_mad_nc_u64_u32 v[6:7], 0x3c439041, v28, v[6:7]
	v_mov_b32_e32 v26, v7
	s_delay_alu instid0(VALU_DEP_1) | instskip(NEXT) | instid1(VALU_DEP_1)
	v_mad_nc_u64_u32 v[26:27], 0xdb629599, v28, v[26:27]
	v_mov_b32_e32 v32, v27
	s_delay_alu instid0(VALU_DEP_1) | instskip(NEXT) | instid1(VALU_DEP_1)
	v_mad_nc_u64_u32 v[32:33], 0xf534ddc0, v28, v[32:33]
	v_dual_mov_b32 v34, v33 :: v_dual_cndmask_b32 v6, v32, v6, s4
	s_delay_alu instid0(VALU_DEP_1) | instskip(NEXT) | instid1(VALU_DEP_1)
	v_mad_nc_u64_u32 v[34:35], 0xfc2757d1, v28, v[34:35]
	v_dual_mov_b32 v73, v29 :: v_dual_mov_b32 v42, v35
	s_delay_alu instid0(VALU_DEP_1) | instskip(NEXT) | instid1(VALU_DEP_1)
	v_mad_nc_u64_u32 v[42:43], 0x4e441529, v28, v[42:43]
	v_dual_cndmask_b32 v3, v42, v32, s4 :: v_dual_mov_b32 v72, v43
	s_delay_alu instid0(VALU_DEP_1) | instskip(NEXT) | instid1(VALU_DEP_1)
	v_mad_nc_u64_u32 v[72:73], 0xa2f9836e, v28, v[72:73]
	v_cndmask_b32_e64 v4, v72, v34, s4
	s_delay_alu instid0(VALU_DEP_2) | instskip(SKIP_1) | instid1(VALU_DEP_2)
	v_cndmask_b32_e64 v7, v73, v42, s4
	v_cndmask_b32_e64 v73, 0x7fc00000, v0, s10
	v_dual_cndmask_b32 v5, v4, v3, s5 :: v_dual_cndmask_b32 v4, v7, v4, s5
	s_delay_alu instid0(VALU_DEP_1) | instskip(NEXT) | instid1(VALU_DEP_1)
	v_dual_cndmask_b32 v7, v34, v26, s4 :: v_dual_cndmask_b32 v4, v4, v5, s6
	v_cndmask_b32_e64 v3, v3, v7, s5
	s_delay_alu instid0(VALU_DEP_1) | instskip(NEXT) | instid1(VALU_DEP_1)
	v_cndmask_b32_e64 v5, v5, v3, s6
	v_alignbit_b32 v23, v4, v5, v22
	s_delay_alu instid0(VALU_DEP_1) | instskip(NEXT) | instid1(VALU_DEP_1)
	v_cndmask_b32_e64 v4, v23, v4, s7
	v_dual_cndmask_b32 v7, v7, v6, s5 :: v_dual_lshrrev_b32 v27, 29, v4
	v_bfe_u32 v28, v4, 29, 1
	s_delay_alu instid0(VALU_DEP_1) | instskip(NEXT) | instid1(VALU_DEP_1)
	v_dual_cndmask_b32 v3, v3, v7, s6 :: v_dual_sub_nc_u32 v32, 0, v28
	v_alignbit_b32 v23, v5, v3, v22
	s_delay_alu instid0(VALU_DEP_1) | instskip(NEXT) | instid1(VALU_DEP_1)
	v_dual_cndmask_b32 v2, v26, v2, s4 :: v_dual_cndmask_b32 v5, v23, v5, s7
	v_cndmask_b32_e64 v2, v6, v2, s5
	s_delay_alu instid0(VALU_DEP_2) | instskip(NEXT) | instid1(VALU_DEP_2)
	v_alignbit_b32 v23, v4, v5, 30
	v_cndmask_b32_e64 v2, v7, v2, s6
	s_delay_alu instid0(VALU_DEP_2) | instskip(NEXT) | instid1(VALU_DEP_2)
	v_xor_b32_e32 v23, v23, v32
	v_alignbit_b32 v6, v3, v2, v22
	s_delay_alu instid0(VALU_DEP_1) | instskip(NEXT) | instid1(VALU_DEP_3)
	v_cndmask_b32_e64 v3, v6, v3, s7
	v_clz_i32_u32_e32 v6, v23
	s_delay_alu instid0(VALU_DEP_2) | instskip(NEXT) | instid1(VALU_DEP_2)
	v_alignbit_b32 v5, v5, v3, 30
	v_min_u32_e32 v6, 32, v6
	v_alignbit_b32 v2, v3, v2, 30
	s_delay_alu instid0(VALU_DEP_2) | instskip(NEXT) | instid1(VALU_DEP_2)
	v_dual_sub_nc_u32 v7, 31, v6 :: v_dual_bitop2_b32 v5, v5, v32 bitop3:0x14
	v_xor_b32_e32 v2, v2, v32
	s_delay_alu instid0(VALU_DEP_2) | instskip(NEXT) | instid1(VALU_DEP_2)
	v_alignbit_b32 v22, v23, v5, v7
	v_alignbit_b32 v2, v5, v2, v7
	s_delay_alu instid0(VALU_DEP_1) | instskip(NEXT) | instid1(VALU_DEP_1)
	v_alignbit_b32 v3, v22, v2, 9
	v_clz_i32_u32_e32 v5, v3
	s_delay_alu instid0(VALU_DEP_1) | instskip(NEXT) | instid1(VALU_DEP_1)
	v_min_u32_e32 v5, 32, v5
	v_not_b32_e32 v7, v5
	v_add_lshl_u32 v5, v5, v6, 23
	s_delay_alu instid0(VALU_DEP_2) | instskip(SKIP_1) | instid1(VALU_DEP_1)
	v_alignbit_b32 v2, v3, v2, v7
	v_lshlrev_b32_e32 v3, 31, v27
	v_or_b32_e32 v7, 0x33000000, v3
	s_delay_alu instid0(VALU_DEP_3) | instskip(NEXT) | instid1(VALU_DEP_2)
	v_dual_lshrrev_b32 v2, 9, v2 :: v_dual_bitop2_b32 v3, 0.5, v3 bitop3:0x54
	v_sub_nc_u32_e32 v5, v7, v5
	s_delay_alu instid0(VALU_DEP_1) | instskip(SKIP_2) | instid1(VALU_DEP_1)
	v_or_b32_e32 v2, v5, v2
	v_lshrrev_b32_e32 v5, 9, v22
	v_lshlrev_b32_e32 v6, 23, v6
	v_sub_nc_u32_e32 v3, v3, v6
	s_delay_alu instid0(VALU_DEP_1) | instskip(NEXT) | instid1(VALU_DEP_1)
	v_or_b32_e32 v3, v5, v3
	v_mul_f32_e32 v5, 0x3fc90fda, v3
	s_delay_alu instid0(VALU_DEP_1) | instskip(NEXT) | instid1(VALU_DEP_1)
	v_fma_f32 v6, 0x3fc90fda, v3, -v5
	v_dual_fmac_f32 v6, 0x33a22168, v3 :: v_dual_lshrrev_b32 v3, 30, v4
	s_delay_alu instid0(VALU_DEP_1) | instskip(NEXT) | instid1(VALU_DEP_1)
	v_dual_fmac_f32 v6, 0x3fc90fda, v2 :: v_dual_add_nc_u32 v3, v28, v3
	v_dual_cndmask_b32 v3, v3, v68, s9 :: v_dual_add_f32 v2, v5, v6
	s_delay_alu instid0(VALU_DEP_1) | instskip(NEXT) | instid1(VALU_DEP_1)
	v_cndmask_b32_e64 v2, v2, v63, s9
	v_mul_f32_e32 v4, v2, v2
	s_delay_alu instid0(VALU_DEP_1) | instskip(NEXT) | instid1(VALU_DEP_1)
	v_fmaak_f32 v5, s54, v4, 0x3c0881c4
	v_fmaak_f32 v5, v4, v5, 0xbe2aaa9d
	s_delay_alu instid0(VALU_DEP_1) | instskip(NEXT) | instid1(VALU_DEP_1)
	v_mul_f32_e32 v5, v4, v5
	v_dual_fmac_f32 v2, v2, v5 :: v_dual_fmaak_f32 v5, s56, v4, 0xbab64f3b
	s_delay_alu instid0(VALU_DEP_1) | instskip(NEXT) | instid1(VALU_DEP_1)
	v_fmaak_f32 v5, v4, v5, 0x3d2aabf7
	v_fmaak_f32 v5, v4, v5, 0xbf000004
	s_delay_alu instid0(VALU_DEP_1) | instskip(SKIP_1) | instid1(VALU_DEP_1)
	v_fma_f32 v4, v4, v5, 1.0
	v_dual_lshlrev_b32 v3, 30, v3 :: v_dual_bitop2_b32 v5, 1, v3 bitop3:0x40
	v_cmp_eq_u32_e64 s4, 0, v5
	s_delay_alu instid0(VALU_DEP_2) | instskip(NEXT) | instid1(VALU_DEP_2)
	v_and_b32_e32 v3, 0x80000000, v3
	v_cndmask_b32_e64 v2, v4, v2, s4
	s_delay_alu instid0(VALU_DEP_1) | instskip(NEXT) | instid1(VALU_DEP_1)
	v_xor3_b32 v2, v3, v41, v2
	v_dual_mov_b32 v41, v40 :: v_dual_bitop2_b32 v2, v2, v62 bitop3:0x14
	v_mov_b64_e32 v[62:63], s[46:47]
	s_delay_alu instid0(VALU_DEP_2) | instskip(NEXT) | instid1(VALU_DEP_1)
	v_cndmask_b32_e64 v72, 0x7fc00000, v2, s11
	v_cmp_eq_f32_e64 s4, 1.0, v72
	v_frexp_mant_f32_e64 v0, |v72|
	v_cmp_gt_f32_e64 s6, 0, v72
	s_delay_alu instid0(VALU_DEP_3) | instskip(NEXT) | instid1(VALU_DEP_3)
	v_cndmask_b32_e64 v5, 0x40400000, 1.0, s4
	v_cmp_gt_f32_e64 s4, 0x3f2aaaab, v0
	s_delay_alu instid0(VALU_DEP_1) | instskip(NEXT) | instid1(VALU_DEP_1)
	v_cndmask_b32_e64 v2, 1.0, 2.0, s4
	v_mul_f32_e32 v0, v0, v2
	s_delay_alu instid0(VALU_DEP_1) | instskip(NEXT) | instid1(VALU_DEP_1)
	v_add_f32_e32 v2, 1.0, v0
	v_add_f32_e32 v3, -1.0, v2
	v_rcp_f32_e32 v28, v2
	s_delay_alu instid0(VALU_DEP_1)
	v_dual_sub_f32 v4, v0, v3 :: v_dual_add_f32 v3, -1.0, v0
	s_delay_alu instid0(TRANS32_DEP_1) | instid1(VALU_DEP_1)
	v_mul_f32_e32 v0, v3, v28
	s_delay_alu instid0(VALU_DEP_1) | instskip(NEXT) | instid1(VALU_DEP_1)
	v_mul_f32_e32 v6, v2, v0
	v_fma_f32 v22, v0, v2, -v6
	s_delay_alu instid0(VALU_DEP_1) | instskip(NEXT) | instid1(VALU_DEP_1)
	v_fmac_f32_e32 v22, v0, v4
	v_add_f32_e32 v2, v6, v22
	s_delay_alu instid0(VALU_DEP_1) | instskip(NEXT) | instid1(VALU_DEP_1)
	v_dual_sub_f32 v7, v3, v2 :: v_dual_mov_b32 v23, v2
	v_pk_add_f32 v[26:27], v[2:3], v[6:7] neg_lo:[0,1] neg_hi:[0,1]
	s_delay_alu instid0(VALU_DEP_1) | instskip(NEXT) | instid1(VALU_DEP_1)
	v_pk_add_f32 v[2:3], v[26:27], v[22:23] neg_lo:[0,1] neg_hi:[0,1]
	v_add_f32_e32 v2, v2, v3
	s_delay_alu instid0(VALU_DEP_1) | instskip(NEXT) | instid1(VALU_DEP_1)
	v_add_f32_e32 v2, v7, v2
	v_mul_f32_e32 v3, v28, v2
	s_delay_alu instid0(VALU_DEP_1) | instskip(NEXT) | instid1(VALU_DEP_1)
	v_add_f32_e32 v2, v0, v3
	v_sub_f32_e32 v0, v2, v0
	s_delay_alu instid0(VALU_DEP_1) | instskip(NEXT) | instid1(VALU_DEP_1)
	v_dual_sub_f32 v4, v3, v0 :: v_dual_mul_f32 v0, v2, v2
	v_dual_add_f32 v6, v4, v4 :: v_dual_fma_f32 v3, v2, v2, -v0
	s_delay_alu instid0(VALU_DEP_1) | instskip(NEXT) | instid1(VALU_DEP_1)
	v_fmac_f32_e32 v3, v2, v6
	v_add_f32_e32 v6, v0, v3
	s_delay_alu instid0(VALU_DEP_1) | instskip(NEXT) | instid1(VALU_DEP_1)
	v_dual_fmaak_f32 v7, s55, v6, 0x3e91f4c4 :: v_dual_sub_f32 v0, v6, v0
	v_dual_fmaak_f32 v7, v6, v7, 0x3ecccdef :: v_dual_sub_f32 v28, v3, v0
	s_delay_alu instid0(VALU_DEP_1) | instskip(NEXT) | instid1(VALU_DEP_1)
	v_mul_f32_e32 v3, v6, v7
	v_fma_f32 v0, v6, v7, -v3
	s_delay_alu instid0(VALU_DEP_1) | instskip(NEXT) | instid1(VALU_DEP_1)
	v_fmac_f32_e32 v0, v28, v7
	v_add_f32_e32 v23, v3, v0
	s_delay_alu instid0(VALU_DEP_1) | instskip(NEXT) | instid1(VALU_DEP_1)
	v_sub_f32_e32 v22, v23, v3
	v_pk_add_f32 v[32:33], v[22:23], v[62:63]
	v_pk_add_f32 v[26:27], v[0:1], v[22:23] neg_lo:[0,1] neg_hi:[0,1]
	s_delay_alu instid0(VALU_DEP_2) | instskip(NEXT) | instid1(VALU_DEP_1)
	v_mov_b32_e32 v27, v33
	v_pk_add_f32 v[26:27], v[26:27], v[48:49]
	s_delay_alu instid0(VALU_DEP_1) | instskip(SKIP_1) | instid1(VALU_DEP_2)
	v_dual_mov_b32 v3, v26 :: v_dual_sub_f32 v7, v23, v27
	v_mov_b32_e32 v23, v26
	v_pk_mul_f32 v[26:27], v[2:3], v[6:7]
	s_delay_alu instid0(VALU_DEP_2) | instskip(NEXT) | instid1(VALU_DEP_1)
	v_pk_add_f32 v[22:23], v[22:23], v[6:7]
	v_dual_fma_f32 v32, v6, v2, -v26 :: v_dual_mov_b32 v27, v23
	s_delay_alu instid0(VALU_DEP_1) | instskip(NEXT) | instid1(VALU_DEP_1)
	v_fmac_f32_e32 v32, v6, v4
	v_fmac_f32_e32 v32, v28, v2
	s_delay_alu instid0(VALU_DEP_1) | instskip(NEXT) | instid1(VALU_DEP_1)
	v_pk_add_f32 v[6:7], v[26:27], v[32:33]
	v_sub_f32_e32 v0, v6, v26
	s_delay_alu instid0(VALU_DEP_1) | instskip(SKIP_1) | instid1(VALU_DEP_2)
	v_dual_sub_f32 v3, v32, v0 :: v_dual_sub_f32 v0, v33, v7
	v_ldexp_f32 v33, v2, 1
	v_add_f32_e32 v27, v23, v0
	v_mov_b32_e32 v0, v7
	s_delay_alu instid0(VALU_DEP_1) | instskip(NEXT) | instid1(VALU_DEP_1)
	v_pk_mul_f32 v[22:23], v[6:7], v[0:1]
	v_dual_mov_b32 v23, v33 :: v_dual_fma_f32 v26, v6, v7, -v22
	s_delay_alu instid0(VALU_DEP_1) | instskip(NEXT) | instid1(VALU_DEP_1)
	v_fmac_f32_e32 v26, v6, v27
	v_fmac_f32_e32 v26, v3, v7
	v_cvt_f64_f32_e64 v[6:7], |v72|
	s_delay_alu instid0(VALU_DEP_1) | instskip(NEXT) | instid1(VALU_DEP_3)
	v_frexp_exp_i32_f64_e32 v0, v[6:7]
	v_add_f32_e32 v7, v22, v26
	s_delay_alu instid0(VALU_DEP_1) | instskip(NEXT) | instid1(VALU_DEP_3)
	v_dual_mov_b32 v27, v7 :: v_dual_mov_b32 v34, v7
	v_subrev_co_ci_u32_e64 v0, null, 0, v0, s4
	s_delay_alu instid0(VALU_DEP_1) | instskip(NEXT) | instid1(VALU_DEP_1)
	v_cvt_f32_i32_e32 v0, v0
	v_mul_f32_e32 v6, 0x3f317218, v0
	s_delay_alu instid0(VALU_DEP_1) | instskip(NEXT) | instid1(VALU_DEP_1)
	v_fma_f32 v32, 0x3f317218, v0, -v6
	v_fmac_f32_e32 v32, 0xb102e308, v0
	v_ldexp_f32 v0, v4, 1
	s_delay_alu instid0(VALU_DEP_2) | instskip(NEXT) | instid1(VALU_DEP_1)
	v_pk_add_f32 v[2:3], v[6:7], v[32:33]
	v_dual_mov_b32 v35, v3 :: v_dual_mov_b32 v33, v2
	s_delay_alu instid0(VALU_DEP_1) | instskip(NEXT) | instid1(VALU_DEP_1)
	v_pk_add_f32 v[22:23], v[34:35], v[22:23] neg_lo:[0,1] neg_hi:[0,1]
	v_pk_add_f32 v[22:23], v[26:27], v[22:23] neg_lo:[0,1] neg_hi:[0,1]
	s_delay_alu instid0(VALU_DEP_1) | instskip(NEXT) | instid1(VALU_DEP_1)
	v_add_f32_e32 v0, v0, v22
	v_add_f32_e32 v7, v0, v23
	s_delay_alu instid0(VALU_DEP_1) | instskip(SKIP_2) | instid1(VALU_DEP_3)
	v_pk_add_f32 v[26:27], v[2:3], v[6:7]
	v_pk_add_f32 v[22:23], v[2:3], v[6:7] neg_lo:[0,1] neg_hi:[0,1]
	v_dual_mov_b32 v6, v7 :: v_dual_mov_b32 v7, v2
	v_mov_b32_e32 v23, v27
	s_delay_alu instid0(VALU_DEP_1) | instskip(SKIP_1) | instid1(VALU_DEP_1)
	v_pk_add_f32 v[34:35], v[32:33], v[22:23] neg_lo:[0,1] neg_hi:[0,1]
	v_pk_add_f32 v[22:23], v[32:33], v[22:23]
	v_dual_mov_b32 v22, v27 :: v_dual_mov_b32 v35, v23
	v_mov_b32_e32 v0, v23
	s_delay_alu instid0(VALU_DEP_1) | instskip(NEXT) | instid1(VALU_DEP_1)
	v_pk_add_f32 v[32:33], v[0:1], v[2:3] neg_lo:[0,1] neg_hi:[0,1]
	v_mov_b32_e32 v33, v32
	s_delay_alu instid0(VALU_DEP_1) | instskip(SKIP_2) | instid1(VALU_DEP_2)
	v_pk_add_f32 v[42:43], v[26:27], v[32:33] neg_lo:[0,1] neg_hi:[0,1]
	v_dual_mov_b32 v26, v3 :: v_dual_mov_b32 v27, v32
	v_mov_b32_e32 v42, v34
	v_pk_add_f32 v[22:23], v[22:23], v[26:27] neg_lo:[0,1] neg_hi:[0,1]
	s_delay_alu instid0(VALU_DEP_1) | instskip(NEXT) | instid1(VALU_DEP_1)
	v_pk_add_f32 v[2:3], v[6:7], v[22:23] neg_lo:[0,1] neg_hi:[0,1]
	v_pk_add_f32 v[6:7], v[42:43], v[2:3]
	v_dual_mul_f32 v42, 0.5, v9 :: v_dual_mov_b32 v43, v29
	s_delay_alu instid0(VALU_DEP_1) | instskip(NEXT) | instid1(VALU_DEP_1)
	v_dual_mov_b32 v4, v7 :: v_dual_sub_f32 v121, v77, v42
	v_pk_add_f32 v[22:23], v[6:7], v[4:5]
	s_delay_alu instid0(VALU_DEP_2) | instskip(NEXT) | instid1(VALU_DEP_2)
	v_and_b32_e32 v122, 0x7fffffff, v121
	v_pk_add_f32 v[26:27], v[0:1], v[22:23]
	s_delay_alu instid0(VALU_DEP_1) | instskip(NEXT) | instid1(VALU_DEP_1)
	v_dual_mov_b32 v3, v22 :: v_dual_mov_b32 v7, v26
	v_pk_add_f32 v[32:33], v[6:7], v[34:35] neg_lo:[0,1] neg_hi:[0,1]
	s_delay_alu instid0(VALU_DEP_1) | instskip(NEXT) | instid1(VALU_DEP_2)
	v_sub_f32_e32 v0, v6, v32
	v_pk_add_f32 v[2:3], v[2:3], v[32:33] neg_lo:[0,1] neg_hi:[0,1]
	s_delay_alu instid0(VALU_DEP_2) | instskip(NEXT) | instid1(VALU_DEP_1)
	v_sub_f32_e32 v0, v34, v0
	v_add_f32_e32 v0, v2, v0
	s_delay_alu instid0(VALU_DEP_1) | instskip(NEXT) | instid1(VALU_DEP_1)
	v_add_f32_e32 v0, v0, v3
	v_add_f32_e32 v2, v26, v0
	s_delay_alu instid0(VALU_DEP_1) | instskip(NEXT) | instid1(VALU_DEP_1)
	v_sub_f32_e32 v3, v2, v26
	v_dual_sub_f32 v0, v0, v3 :: v_dual_mul_f32 v3, v5, v2
	s_delay_alu instid0(VALU_DEP_1) | instskip(SKIP_1) | instid1(VALU_DEP_2)
	v_fma_f32 v2, v5, v2, -v3
	v_cmp_class_f32_e64 s4, v3, 0x204
	v_fmac_f32_e32 v2, v5, v0
	s_delay_alu instid0(VALU_DEP_1) | instskip(NEXT) | instid1(VALU_DEP_1)
	v_add_f32_e32 v0, v3, v2
	v_dual_sub_f32 v4, v0, v3 :: v_dual_cndmask_b32 v0, v0, v3, s4
	s_delay_alu instid0(VALU_DEP_1) | instskip(NEXT) | instid1(VALU_DEP_2)
	v_sub_f32_e32 v2, v2, v4
	v_cmp_neq_f32_e64 s4, 0x7f800000, |v0|
	s_delay_alu instid0(VALU_DEP_1) | instskip(SKIP_1) | instid1(VALU_DEP_1)
	v_cndmask_b32_e64 v2, 0, v2, s4
	v_cmp_eq_f32_e64 s4, 0x42b17218, v0
	v_cndmask_b32_e64 v3, 0, 0x37000000, s4
	s_delay_alu instid0(VALU_DEP_1) | instskip(NEXT) | instid1(VALU_DEP_1)
	v_dual_add_f32 v2, v3, v2 :: v_dual_sub_f32 v0, v0, v3
	v_mul_f32_e32 v3, 0x3fb8aa3b, v0
	s_delay_alu instid0(VALU_DEP_1) | instskip(SKIP_1) | instid1(VALU_DEP_1)
	v_fma_f32 v4, 0x3fb8aa3b, v0, -v3
	v_rndne_f32_e32 v6, v3
	v_dual_sub_f32 v3, v3, v6 :: v_dual_fmac_f32 v4, 0x32a5705f, v0
	v_cmp_ngt_f32_e64 s4, 0xc2ce8ed0, v0
	s_delay_alu instid0(VALU_DEP_2) | instskip(SKIP_1) | instid1(VALU_DEP_2)
	v_add_f32_e32 v3, v3, v4
	v_cvt_i32_f32_e32 v4, v6
	v_exp_f32_e32 v3, v3
	v_nop
	s_delay_alu instid0(TRANS32_DEP_1) | instskip(NEXT) | instid1(VALU_DEP_1)
	v_ldexp_f32 v3, v3, v4
	v_cndmask_b32_e64 v3, 0, v3, s4
	v_cmp_nlt_f32_e64 s4, 0x42b17218, v0
	s_delay_alu instid0(VALU_DEP_1) | instskip(NEXT) | instid1(VALU_DEP_1)
	v_cndmask_b32_e64 v0, 0x7f800000, v3, s4
	v_fma_f32 v2, v0, v2, v0
	v_cmp_class_f32_e64 s4, v0, 0x204
	s_delay_alu instid0(VALU_DEP_1) | instskip(SKIP_1) | instid1(VALU_DEP_1)
	v_cndmask_b32_e64 v0, v2, v0, s4
	v_trunc_f32_e32 v2, v5
	v_cmp_eq_f32_e64 s4, v2, v5
	v_mul_f32_e32 v2, 0.5, v5
	s_delay_alu instid0(VALU_DEP_1) | instskip(NEXT) | instid1(VALU_DEP_1)
	v_trunc_f32_e32 v3, v2
	v_cmp_neq_f32_e64 s5, v3, v2
	s_and_b32 s5, s4, s5
	s_delay_alu instid0(SALU_CYCLE_1) | instskip(NEXT) | instid1(VALU_DEP_1)
	v_dual_cndmask_b32 v2, 1.0, v72, s5 :: v_dual_cndmask_b32 v3, 0, v72, s5
	v_bfi_b32 v0, 0x7fffffff, v0, v2
	s_delay_alu instid0(VALU_DEP_1) | instskip(SKIP_1) | instid1(VALU_DEP_2)
	v_cndmask_b32_e64 v2, 0x7fc00000, v0, s4
	v_cmp_eq_f32_e64 s4, 0, v72
	v_cndmask_b32_e64 v0, v0, v2, s6
	s_delay_alu instid0(VALU_DEP_2) | instskip(SKIP_1) | instid1(VALU_DEP_2)
	v_cndmask_b32_e64 v2, 0x7f800000, 0, s4
	v_cmp_class_f32_e64 s6, v72, 0x204
	v_bfi_b32 v2, 0x7fffffff, v2, v3
	s_or_b32 s6, s4, s6
	v_cmp_o_f32_e64 s4, v72, v72
	v_pk_mul_f32 v[72:73], v[40:41], v[72:73] op_sel_hi:[0,1]
	s_delay_alu instid0(VALU_DEP_3) | instskip(NEXT) | instid1(VALU_DEP_1)
	v_cndmask_b32_e64 v0, v0, v2, s6
	v_cndmask_b32_e64 v5, 0x7fc00000, v0, s4
	v_cndmask_b32_e32 v0, v18, v16, vcc_lo
	s_delay_alu instid0(VALU_DEP_1) | instskip(NEXT) | instid1(VALU_DEP_1)
	v_xor_b32_e32 v0, v64, v0
	v_xor3_b32 v0, v0, v65, v19
	s_delay_alu instid0(VALU_DEP_1) | instskip(SKIP_1) | instid1(VALU_DEP_2)
	v_cndmask_b32_e64 v16, 0x7fc00000, v0, s10
	v_cmp_gt_f32_e64 s10, 0x48000000, |v121|
	v_cmp_eq_f32_e32 vcc_lo, 1.0, v16
	v_frexp_mant_f32_e64 v0, |v16|
	v_cmp_gt_f32_e64 s5, 0, v16
	v_cndmask_b32_e64 v28, 0x40400000, 1.0, vcc_lo
	s_delay_alu instid0(VALU_DEP_3) | instskip(SKIP_1) | instid1(VALU_DEP_1)
	v_cmp_gt_f32_e32 vcc_lo, 0x3f2aaaab, v0
	v_cndmask_b32_e64 v2, 1.0, 2.0, vcc_lo
	v_mul_f32_e32 v0, v0, v2
	s_delay_alu instid0(VALU_DEP_1) | instskip(NEXT) | instid1(VALU_DEP_1)
	v_add_f32_e32 v2, 1.0, v0
	v_add_f32_e32 v3, -1.0, v2
	s_delay_alu instid0(VALU_DEP_1)
	v_sub_f32_e32 v4, v0, v3
	v_rcp_f32_e32 v26, v2
	v_add_f32_e32 v3, -1.0, v0
	s_delay_alu instid0(TRANS32_DEP_1) | instid1(VALU_DEP_1)
	v_mul_f32_e32 v0, v3, v26
	s_delay_alu instid0(VALU_DEP_1) | instskip(NEXT) | instid1(VALU_DEP_1)
	v_mul_f32_e32 v6, v2, v0
	v_fma_f32 v18, v0, v2, -v6
	s_delay_alu instid0(VALU_DEP_1) | instskip(NEXT) | instid1(VALU_DEP_1)
	v_fmac_f32_e32 v18, v0, v4
	v_add_f32_e32 v2, v6, v18
	s_delay_alu instid0(VALU_DEP_1) | instskip(NEXT) | instid1(VALU_DEP_1)
	v_dual_sub_f32 v7, v3, v2 :: v_dual_mov_b32 v19, v2
	v_pk_add_f32 v[22:23], v[2:3], v[6:7] neg_lo:[0,1] neg_hi:[0,1]
	s_delay_alu instid0(VALU_DEP_1) | instskip(NEXT) | instid1(VALU_DEP_1)
	v_pk_add_f32 v[2:3], v[22:23], v[18:19] neg_lo:[0,1] neg_hi:[0,1]
	v_add_f32_e32 v2, v2, v3
	s_delay_alu instid0(VALU_DEP_1) | instskip(NEXT) | instid1(VALU_DEP_1)
	v_add_f32_e32 v2, v7, v2
	v_mul_f32_e32 v3, v26, v2
	s_delay_alu instid0(VALU_DEP_1) | instskip(NEXT) | instid1(VALU_DEP_1)
	v_add_f32_e32 v2, v0, v3
	v_sub_f32_e32 v0, v2, v0
	s_delay_alu instid0(VALU_DEP_1) | instskip(NEXT) | instid1(VALU_DEP_1)
	v_dual_sub_f32 v4, v3, v0 :: v_dual_mul_f32 v0, v2, v2
	v_dual_add_f32 v6, v4, v4 :: v_dual_fma_f32 v3, v2, v2, -v0
	s_delay_alu instid0(VALU_DEP_1) | instskip(NEXT) | instid1(VALU_DEP_1)
	v_fmac_f32_e32 v3, v2, v6
	v_add_f32_e32 v6, v0, v3
	s_delay_alu instid0(VALU_DEP_1) | instskip(NEXT) | instid1(VALU_DEP_1)
	v_sub_f32_e32 v0, v6, v0
	v_dual_sub_f32 v32, v3, v0 :: v_dual_fmaak_f32 v7, s55, v6, 0x3e91f4c4
	s_delay_alu instid0(VALU_DEP_1) | instskip(NEXT) | instid1(VALU_DEP_1)
	v_fmaak_f32 v7, v6, v7, 0x3ecccdef
	v_mul_f32_e32 v3, v6, v7
	s_delay_alu instid0(VALU_DEP_1) | instskip(NEXT) | instid1(VALU_DEP_1)
	v_fma_f32 v0, v6, v7, -v3
	v_fmac_f32_e32 v0, v32, v7
	s_delay_alu instid0(VALU_DEP_1) | instskip(NEXT) | instid1(VALU_DEP_1)
	v_add_f32_e32 v19, v3, v0
	v_sub_f32_e32 v18, v19, v3
	s_delay_alu instid0(VALU_DEP_1) | instskip(SKIP_1) | instid1(VALU_DEP_2)
	v_pk_add_f32 v[26:27], v[18:19], v[62:63]
	v_pk_add_f32 v[22:23], v[0:1], v[18:19] neg_lo:[0,1] neg_hi:[0,1]
	v_mov_b32_e32 v23, v27
	s_delay_alu instid0(VALU_DEP_1) | instskip(NEXT) | instid1(VALU_DEP_1)
	v_pk_add_f32 v[22:23], v[22:23], v[48:49]
	v_dual_mov_b32 v3, v22 :: v_dual_sub_f32 v7, v19, v23
	v_mov_b32_e32 v19, v22
	s_delay_alu instid0(VALU_DEP_2) | instskip(NEXT) | instid1(VALU_DEP_2)
	v_pk_mul_f32 v[22:23], v[2:3], v[6:7]
	v_pk_add_f32 v[18:19], v[18:19], v[6:7]
	s_delay_alu instid0(VALU_DEP_1) | instskip(NEXT) | instid1(VALU_DEP_1)
	v_dual_fma_f32 v26, v6, v2, -v22 :: v_dual_mov_b32 v23, v19
	v_fmac_f32_e32 v26, v6, v4
	s_delay_alu instid0(VALU_DEP_1) | instskip(NEXT) | instid1(VALU_DEP_1)
	v_fmac_f32_e32 v26, v32, v2
	v_pk_add_f32 v[6:7], v[22:23], v[26:27]
	s_delay_alu instid0(VALU_DEP_1) | instskip(NEXT) | instid1(VALU_DEP_1)
	v_sub_f32_e32 v0, v6, v22
	v_dual_sub_f32 v3, v26, v0 :: v_dual_sub_f32 v0, v27, v7
	v_ldexp_f32 v27, v2, 1
	s_delay_alu instid0(VALU_DEP_2) | instskip(SKIP_1) | instid1(VALU_DEP_1)
	v_add_f32_e32 v23, v19, v0
	v_mov_b32_e32 v0, v7
	v_pk_mul_f32 v[18:19], v[6:7], v[0:1]
	s_delay_alu instid0(VALU_DEP_1) | instskip(NEXT) | instid1(VALU_DEP_1)
	v_dual_mov_b32 v19, v27 :: v_dual_fma_f32 v22, v6, v7, -v18
	v_fmac_f32_e32 v22, v6, v23
	s_delay_alu instid0(VALU_DEP_1) | instskip(SKIP_1) | instid1(VALU_DEP_1)
	v_fmac_f32_e32 v22, v3, v7
	v_cvt_f64_f32_e64 v[6:7], |v16|
	v_frexp_exp_i32_f64_e32 v0, v[6:7]
	s_delay_alu instid0(VALU_DEP_3) | instskip(NEXT) | instid1(VALU_DEP_1)
	v_add_f32_e32 v7, v18, v22
	v_dual_mov_b32 v32, v7 :: v_dual_mov_b32 v23, v7
	s_delay_alu instid0(VALU_DEP_3) | instskip(NEXT) | instid1(VALU_DEP_1)
	v_subrev_co_ci_u32_e64 v0, null, 0, v0, vcc_lo
	v_cvt_f32_i32_e32 v0, v0
	s_delay_alu instid0(VALU_DEP_1) | instskip(NEXT) | instid1(VALU_DEP_1)
	v_mul_f32_e32 v6, 0x3f317218, v0
	v_fma_f32 v26, 0x3f317218, v0, -v6
	s_delay_alu instid0(VALU_DEP_1) | instskip(SKIP_1) | instid1(VALU_DEP_2)
	v_fmac_f32_e32 v26, 0xb102e308, v0
	v_ldexp_f32 v0, v4, 1
	v_pk_add_f32 v[2:3], v[6:7], v[26:27]
	s_delay_alu instid0(VALU_DEP_1) | instskip(NEXT) | instid1(VALU_DEP_1)
	v_dual_mov_b32 v33, v3 :: v_dual_mov_b32 v27, v2
	v_pk_add_f32 v[18:19], v[32:33], v[18:19] neg_lo:[0,1] neg_hi:[0,1]
	s_delay_alu instid0(VALU_DEP_1) | instskip(NEXT) | instid1(VALU_DEP_1)
	v_pk_add_f32 v[18:19], v[22:23], v[18:19] neg_lo:[0,1] neg_hi:[0,1]
	v_add_f32_e32 v0, v0, v18
	s_delay_alu instid0(VALU_DEP_1) | instskip(NEXT) | instid1(VALU_DEP_1)
	v_add_f32_e32 v7, v0, v19
	v_pk_add_f32 v[22:23], v[2:3], v[6:7]
	v_pk_add_f32 v[18:19], v[2:3], v[6:7] neg_lo:[0,1] neg_hi:[0,1]
	v_dual_mov_b32 v6, v7 :: v_dual_mov_b32 v7, v2
	s_delay_alu instid0(VALU_DEP_3) | instskip(NEXT) | instid1(VALU_DEP_1)
	v_mov_b32_e32 v19, v23
	v_pk_add_f32 v[32:33], v[26:27], v[18:19] neg_lo:[0,1] neg_hi:[0,1]
	v_pk_add_f32 v[18:19], v[26:27], v[18:19]
	s_delay_alu instid0(VALU_DEP_1) | instskip(SKIP_1) | instid1(VALU_DEP_1)
	v_dual_mov_b32 v18, v23 :: v_dual_mov_b32 v33, v19
	v_mov_b32_e32 v0, v19
	v_pk_add_f32 v[26:27], v[0:1], v[2:3] neg_lo:[0,1] neg_hi:[0,1]
	s_delay_alu instid0(VALU_DEP_1) | instskip(NEXT) | instid1(VALU_DEP_1)
	v_mov_b32_e32 v27, v26
	v_pk_add_f32 v[34:35], v[22:23], v[26:27] neg_lo:[0,1] neg_hi:[0,1]
	v_dual_mov_b32 v22, v3 :: v_dual_mov_b32 v23, v26
	v_mov_b32_e32 v34, v32
	s_delay_alu instid0(VALU_DEP_2) | instskip(NEXT) | instid1(VALU_DEP_1)
	v_pk_add_f32 v[18:19], v[18:19], v[22:23] neg_lo:[0,1] neg_hi:[0,1]
	v_pk_add_f32 v[2:3], v[6:7], v[18:19] neg_lo:[0,1] neg_hi:[0,1]
	s_delay_alu instid0(VALU_DEP_1) | instskip(NEXT) | instid1(VALU_DEP_1)
	v_pk_add_f32 v[6:7], v[34:35], v[2:3]
	v_dual_mov_b32 v35, v29 :: v_dual_mov_b32 v4, v7
	s_delay_alu instid0(VALU_DEP_1) | instskip(NEXT) | instid1(VALU_DEP_1)
	v_pk_add_f32 v[18:19], v[6:7], v[4:5]
	v_pk_add_f32 v[22:23], v[0:1], v[18:19]
	v_dual_mov_b32 v3, v18 :: v_dual_mov_b32 v19, v29
	s_delay_alu instid0(VALU_DEP_2) | instskip(NEXT) | instid1(VALU_DEP_1)
	v_dual_mov_b32 v23, v29 :: v_dual_mov_b32 v7, v22
	v_pk_add_f32 v[26:27], v[6:7], v[32:33] neg_lo:[0,1] neg_hi:[0,1]
	s_delay_alu instid0(VALU_DEP_1) | instskip(NEXT) | instid1(VALU_DEP_2)
	v_dual_mov_b32 v33, v29 :: v_dual_sub_f32 v0, v6, v26
	v_pk_add_f32 v[2:3], v[2:3], v[26:27] neg_lo:[0,1] neg_hi:[0,1]
	s_delay_alu instid0(VALU_DEP_2) | instskip(NEXT) | instid1(VALU_DEP_1)
	v_dual_mov_b32 v27, v29 :: v_dual_sub_f32 v0, v32, v0
	v_add_f32_e32 v0, v2, v0
	s_delay_alu instid0(VALU_DEP_1) | instskip(NEXT) | instid1(VALU_DEP_1)
	v_add_f32_e32 v0, v0, v3
	v_add_f32_e32 v2, v22, v0
	s_delay_alu instid0(VALU_DEP_1) | instskip(NEXT) | instid1(VALU_DEP_1)
	v_sub_f32_e32 v3, v2, v22
	v_sub_f32_e32 v0, v0, v3
	v_mul_f32_e32 v3, v28, v2
	s_delay_alu instid0(VALU_DEP_1) | instskip(SKIP_1) | instid1(VALU_DEP_2)
	v_fma_f32 v2, v28, v2, -v3
	v_cmp_class_f32_e64 vcc_lo, v3, 0x204
	v_fmac_f32_e32 v2, v28, v0
	s_delay_alu instid0(VALU_DEP_1) | instskip(NEXT) | instid1(VALU_DEP_1)
	v_add_f32_e32 v0, v3, v2
	v_dual_sub_f32 v4, v0, v3 :: v_dual_cndmask_b32 v0, v0, v3, vcc_lo
	s_delay_alu instid0(VALU_DEP_1) | instskip(NEXT) | instid1(VALU_DEP_2)
	v_sub_f32_e32 v2, v2, v4
	v_cmp_neq_f32_e64 vcc_lo, 0x7f800000, |v0|
	s_delay_alu instid0(VALU_DEP_2) | instskip(SKIP_1) | instid1(VALU_DEP_3)
	v_cndmask_b32_e32 v2, 0, v2, vcc_lo
	v_cmp_eq_f32_e32 vcc_lo, 0x42b17218, v0
	v_cndmask_b32_e64 v3, 0, 0x37000000, vcc_lo
	s_delay_alu instid0(VALU_DEP_1) | instskip(NEXT) | instid1(VALU_DEP_1)
	v_dual_sub_f32 v0, v0, v3 :: v_dual_add_f32 v2, v3, v2
	v_mul_f32_e32 v3, 0x3fb8aa3b, v0
	v_cmp_ngt_f32_e32 vcc_lo, 0xc2ce8ed0, v0
	s_delay_alu instid0(VALU_DEP_2) | instskip(SKIP_1) | instid1(VALU_DEP_1)
	v_fma_f32 v4, 0x3fb8aa3b, v0, -v3
	v_rndne_f32_e32 v6, v3
	v_dual_fmac_f32 v4, 0x32a5705f, v0 :: v_dual_sub_f32 v3, v3, v6
	s_delay_alu instid0(VALU_DEP_1) | instskip(SKIP_2) | instid1(VALU_DEP_3)
	v_add_f32_e32 v3, v3, v4
	v_cvt_i32_f32_e32 v4, v6
	v_mov_b32_e32 v6, v67
	v_exp_f32_e32 v3, v3
	v_nop
	s_delay_alu instid0(TRANS32_DEP_1) | instskip(NEXT) | instid1(VALU_DEP_1)
	v_ldexp_f32 v3, v3, v4
	v_cndmask_b32_e32 v3, 0, v3, vcc_lo
	v_cmp_nlt_f32_e32 vcc_lo, 0x42b17218, v0
	s_delay_alu instid0(VALU_DEP_2) | instskip(NEXT) | instid1(VALU_DEP_1)
	v_cndmask_b32_e32 v0, 0x7f800000, v3, vcc_lo
	v_fma_f32 v2, v0, v2, v0
	v_cmp_class_f32_e64 vcc_lo, v0, 0x204
	s_delay_alu instid0(VALU_DEP_2) | instskip(SKIP_1) | instid1(VALU_DEP_1)
	v_cndmask_b32_e32 v0, v2, v0, vcc_lo
	v_trunc_f32_e32 v2, v28
	v_cmp_eq_f32_e32 vcc_lo, v2, v28
	v_mul_f32_e32 v2, 0.5, v28
	s_delay_alu instid0(VALU_DEP_1) | instskip(NEXT) | instid1(VALU_DEP_1)
	v_trunc_f32_e32 v3, v2
	v_cmp_neq_f32_e64 s4, v3, v2
	s_and_b32 s4, vcc_lo, s4
	s_delay_alu instid0(SALU_CYCLE_1) | instskip(NEXT) | instid1(VALU_DEP_1)
	v_dual_cndmask_b32 v2, 1.0, v16, s4 :: v_dual_cndmask_b32 v3, 0, v16, s4
	v_bfi_b32 v0, 0x7fffffff, v0, v2
	s_delay_alu instid0(VALU_DEP_1) | instskip(SKIP_1) | instid1(VALU_DEP_2)
	v_cndmask_b32_e32 v2, 0x7fc00000, v0, vcc_lo
	v_cmp_eq_f32_e32 vcc_lo, 0, v16
	v_cndmask_b32_e64 v0, v0, v2, s5
	v_cndmask_b32_e64 v2, 0x7f800000, 0, vcc_lo
	v_cmp_class_f32_e64 s5, v16, 0x204
	s_delay_alu instid0(VALU_DEP_2) | instskip(SKIP_2) | instid1(VALU_DEP_2)
	v_bfi_b32 v2, 0x7fffffff, v2, v3
	s_or_b32 s5, vcc_lo, s5
	v_cmp_o_f32_e32 vcc_lo, v16, v16
	v_cndmask_b32_e64 v0, v0, v2, s5
	s_delay_alu instid0(VALU_DEP_1) | instskip(NEXT) | instid1(VALU_DEP_1)
	v_cndmask_b32_e32 v0, 0x7fc00000, v0, vcc_lo
	v_dual_sub_f32 v3, v5, v0 :: v_dual_add_f32 v2, v5, v0
	v_div_scale_f32 v0, null, v40, v40, v78
	s_delay_alu instid0(VALU_DEP_2) | instskip(NEXT) | instid1(VALU_DEP_2)
	v_pk_mul_f32 v[62:63], v[40:41], v[2:3] op_sel_hi:[0,1]
	v_rcp_f32_e32 v4, v0
	v_cndmask_b32_e64 v2, 0x7fc00000, v14, s12
	s_delay_alu instid0(VALU_DEP_1) | instskip(NEXT) | instid1(TRANS32_DEP_1)
	v_dual_mov_b32 v3, v78 :: v_dual_mov_b32 v7, v2
	v_fma_f32 v5, -v0, v4, 1.0
	s_delay_alu instid0(VALU_DEP_2) | instskip(NEXT) | instid1(VALU_DEP_2)
	v_pk_mul_f32 v[64:65], v[6:7], v[78:79]
	v_fmac_f32_e32 v4, v5, v4
	v_div_scale_f32 v5, vcc_lo, v78, v40, v78
	s_delay_alu instid0(VALU_DEP_1) | instskip(NEXT) | instid1(VALU_DEP_1)
	v_mul_f32_e32 v6, v5, v4
	v_fma_f32 v7, -v0, v6, v5
	s_delay_alu instid0(VALU_DEP_1) | instskip(NEXT) | instid1(VALU_DEP_1)
	v_fmac_f32_e32 v6, v7, v4
	v_fma_f32 v0, -v0, v6, v5
	s_delay_alu instid0(VALU_DEP_1) | instskip(SKIP_2) | instid1(VALU_DEP_3)
	v_div_fmas_f32 v0, v0, v4, v6
	v_pk_add_f32 v[6:7], v[2:3], v[66:67] neg_lo:[0,1] neg_hi:[0,1]
	v_pk_add_f32 v[2:3], v[2:3], v[66:67]
	v_div_fixup_f32 v16, v0, v40, v78
	s_delay_alu instid0(VALU_DEP_3) | instskip(NEXT) | instid1(VALU_DEP_1)
	v_dual_mov_b32 v3, v7 :: v_dual_cndmask_b32 v0, v81, v83, s14
	v_pk_mul_f32 v[66:67], v[40:41], v[2:3] op_sel_hi:[0,1]
	s_delay_alu instid0(VALU_DEP_2) | instskip(NEXT) | instid1(VALU_DEP_1)
	v_mul_f32_e32 v3, v0, v0
	v_fmaak_f32 v4, s54, v3, 0x3c0881c4
	s_delay_alu instid0(VALU_DEP_1) | instskip(NEXT) | instid1(VALU_DEP_1)
	v_fmaak_f32 v4, v3, v4, 0xbe2aaa9d
	v_mul_f32_e32 v4, v3, v4
	s_delay_alu instid0(VALU_DEP_1) | instskip(SKIP_1) | instid1(VALU_DEP_1)
	v_fmac_f32_e32 v0, v0, v4
	v_fmaak_f32 v4, s56, v3, 0xbab64f3b
	v_fmaak_f32 v4, v3, v4, 0x3d2aabf7
	s_delay_alu instid0(VALU_DEP_1) | instskip(NEXT) | instid1(VALU_DEP_1)
	v_fmaak_f32 v4, v3, v4, 0xbf000004
	v_fma_f32 v3, v3, v4, 1.0
	v_cndmask_b32_e64 v2, v82, v84, s14
	s_delay_alu instid0(VALU_DEP_1) | instskip(NEXT) | instid1(VALU_DEP_1)
	v_and_b32_e32 v4, 1, v2
	v_cmp_eq_u32_e32 vcc_lo, 0, v4
	s_delay_alu instid0(VALU_DEP_4) | instskip(SKIP_1) | instid1(VALU_DEP_1)
	v_dual_cndmask_b32 v4, v3, v0, vcc_lo :: v_dual_cndmask_b32 v0, -v0, v3, vcc_lo
	v_lshlrev_b32_e32 v2, 30, v2
	v_and_b32_e32 v2, 0x80000000, v2
	s_delay_alu instid0(VALU_DEP_1) | instskip(NEXT) | instid1(VALU_DEP_4)
	v_xor_b32_e32 v0, v2, v0
	v_xor3_b32 v4, v70, v4, v75
	v_mov_b32_e32 v70, v40
	s_delay_alu instid0(VALU_DEP_3) | instskip(NEXT) | instid1(VALU_DEP_3)
	v_cndmask_b32_e64 v3, 0x7fc00000, v0, s16
	v_dual_cndmask_b32 v0, v87, v89, s17 :: v_dual_bitop2_b32 v2, v2, v4 bitop3:0x14
	s_delay_alu instid0(VALU_DEP_1) | instskip(NEXT) | instid1(VALU_DEP_1)
	v_cndmask_b32_e64 v2, 0x7fc00000, v2, s16
	v_pk_mul_f32 v[68:69], v[10:11], v[2:3] op_sel_hi:[0,1]
	v_cndmask_b32_e64 v2, v88, v90, s17
	s_delay_alu instid0(VALU_DEP_4) | instskip(NEXT) | instid1(VALU_DEP_1)
	v_mul_f32_e32 v3, v0, v0
	v_fmaak_f32 v4, s54, v3, 0x3c0881c4
	s_delay_alu instid0(VALU_DEP_1) | instskip(NEXT) | instid1(VALU_DEP_1)
	v_fmaak_f32 v4, v3, v4, 0xbe2aaa9d
	v_mul_f32_e32 v4, v3, v4
	s_delay_alu instid0(VALU_DEP_1) | instskip(SKIP_1) | instid1(VALU_DEP_1)
	v_fmac_f32_e32 v0, v0, v4
	v_fmaak_f32 v4, s56, v3, 0xbab64f3b
	v_fmaak_f32 v4, v3, v4, 0x3d2aabf7
	s_delay_alu instid0(VALU_DEP_1) | instskip(NEXT) | instid1(VALU_DEP_1)
	v_fmaak_f32 v4, v3, v4, 0xbf000004
	v_fma_f32 v3, v3, v4, 1.0
	v_dual_lshlrev_b32 v2, 30, v2 :: v_dual_bitop2_b32 v4, 1, v2 bitop3:0x40
	s_delay_alu instid0(VALU_DEP_1) | instskip(NEXT) | instid1(VALU_DEP_2)
	v_cmp_eq_u32_e32 vcc_lo, 0, v4
	v_and_b32_e32 v2, 0x80000000, v2
	s_delay_alu instid0(VALU_DEP_4) | instskip(NEXT) | instid1(VALU_DEP_1)
	v_dual_cndmask_b32 v4, v3, v0, vcc_lo :: v_dual_cndmask_b32 v0, -v0, v3, vcc_lo
	v_xor3_b32 v4, v85, v4, v86
	s_delay_alu instid0(VALU_DEP_2) | instskip(SKIP_1) | instid1(VALU_DEP_3)
	v_xor_b32_e32 v0, v2, v0
	v_pk_mul_f32 v[84:85], v[38:39], s[60:61] op_sel_hi:[1,0]
	v_xor_b32_e32 v2, v2, v4
	s_delay_alu instid0(VALU_DEP_3) | instskip(SKIP_1) | instid1(VALU_DEP_4)
	v_cndmask_b32_e64 v3, 0x7fc00000, v0, s18
	v_cndmask_b32_e64 v0, v97, v102, s20
	v_cmp_class_f32_e64 s12, v85, 0x1f8
	v_mov_b32_e32 v97, v29
	v_cndmask_b32_e64 v2, 0x7fc00000, v2, s18
	s_delay_alu instid0(VALU_DEP_1) | instskip(SKIP_1) | instid1(VALU_DEP_1)
	v_pk_mul_f32 v[70:71], v[2:3], v[70:71]
	v_mul_f32_e32 v3, v0, v0
	v_fmaak_f32 v4, s54, v3, 0x3c0881c4
	s_delay_alu instid0(VALU_DEP_1) | instskip(NEXT) | instid1(VALU_DEP_1)
	v_fmaak_f32 v4, v3, v4, 0xbe2aaa9d
	v_dual_cndmask_b32 v2, v101, v106, s20 :: v_dual_mul_f32 v4, v3, v4
	s_delay_alu instid0(VALU_DEP_1) | instskip(SKIP_1) | instid1(VALU_DEP_1)
	v_fmac_f32_e32 v0, v0, v4
	v_fmaak_f32 v4, s56, v3, 0xbab64f3b
	v_fmaak_f32 v4, v3, v4, 0x3d2aabf7
	s_delay_alu instid0(VALU_DEP_1) | instskip(NEXT) | instid1(VALU_DEP_1)
	v_fmaak_f32 v4, v3, v4, 0xbf000004
	v_fma_f32 v3, v3, v4, 1.0
	v_dual_lshlrev_b32 v2, 30, v2 :: v_dual_bitop2_b32 v4, 1, v2 bitop3:0x40
	s_delay_alu instid0(VALU_DEP_1) | instskip(NEXT) | instid1(VALU_DEP_2)
	v_cmp_eq_u32_e32 vcc_lo, 0, v4
	v_and_or_b32 v5, 0x80000000, v2, v12
	s_delay_alu instid0(VALU_DEP_4) | instskip(NEXT) | instid1(VALU_DEP_1)
	v_dual_cndmask_b32 v4, v3, v0, vcc_lo :: v_dual_cndmask_b32 v0, -v0, v3, vcc_lo
	v_xor3_b32 v4, v5, v74, v4
	s_delay_alu instid0(VALU_DEP_2) | instskip(NEXT) | instid1(VALU_DEP_2)
	v_bitop3_b32 v0, v2, v0, 0x80000000 bitop3:0x6c
	v_cndmask_b32_e64 v2, 0x7fc00000, v4, s22
	s_delay_alu instid0(VALU_DEP_2) | instskip(NEXT) | instid1(VALU_DEP_1)
	v_cndmask_b32_e64 v3, 0x7fc00000, v0, s22
	v_dual_mov_b32 v7, v2 :: v_dual_mov_b32 v6, v3
	v_pk_mul_f32 v[80:81], v[38:39], v[2:3]
	s_delay_alu instid0(VALU_DEP_2) | instskip(SKIP_1) | instid1(VALU_DEP_2)
	v_pk_mul_f32 v[82:83], v[38:39], v[6:7] op_sel:[1,0]
	v_mov_b32_e32 v7, v29
	v_pk_fma_f32 v[74:75], v[38:39], v[2:3], v[82:83] op_sel_hi:[0,1,1]
	v_add_f32_e32 v74, v42, v77
	s_delay_alu instid0(VALU_DEP_1) | instskip(NEXT) | instid1(VALU_DEP_1)
	v_and_b32_e32 v120, 0x7fffffff, v74
	v_lshrrev_b32_e32 v0, 23, v120
	v_and_or_b32 v28, v120, s49, 0x800000
	s_delay_alu instid0(VALU_DEP_2) | instskip(NEXT) | instid1(VALU_DEP_1)
	v_add_nc_u32_e32 v0, 0xffffff88, v0
	v_cmp_lt_u32_e64 s4, 63, v0
	s_delay_alu instid0(VALU_DEP_1) | instskip(NEXT) | instid1(VALU_DEP_1)
	v_cndmask_b32_e64 v2, 0, 0xffffffc0, s4
	v_add_nc_u32_e32 v0, v2, v0
	s_delay_alu instid0(VALU_DEP_1) | instskip(NEXT) | instid1(VALU_DEP_1)
	v_cmp_lt_u32_e64 s5, 31, v0
	v_cndmask_b32_e64 v2, 0, 0xffffffe0, s5
	s_delay_alu instid0(VALU_DEP_1) | instskip(NEXT) | instid1(VALU_DEP_1)
	v_add_nc_u32_e32 v0, v2, v0
	v_cmp_lt_u32_e64 s6, 31, v0
	s_delay_alu instid0(VALU_DEP_1) | instskip(NEXT) | instid1(VALU_DEP_1)
	v_cndmask_b32_e64 v2, 0, 0xffffffe0, s6
	v_add_nc_u32_e32 v0, v2, v0
	v_mul_u64_e32 v[2:3], s[34:35], v[28:29]
	s_delay_alu instid0(VALU_DEP_1) | instskip(SKIP_1) | instid1(VALU_DEP_2)
	v_mov_b32_e32 v6, v3
	v_cmp_gt_f32_e64 vcc_lo, 0x48000000, |v74|
	v_mad_nc_u64_u32 v[6:7], 0x3c439041, v28, v[6:7]
	s_delay_alu instid0(VALU_DEP_1) | instskip(NEXT) | instid1(VALU_DEP_1)
	v_mov_b32_e32 v18, v7
	v_mad_nc_u64_u32 v[18:19], 0xdb629599, v28, v[18:19]
	s_delay_alu instid0(VALU_DEP_1) | instskip(NEXT) | instid1(VALU_DEP_1)
	v_dual_mov_b32 v22, v19 :: v_dual_cndmask_b32 v2, v18, v2, s4
	v_mad_nc_u64_u32 v[22:23], 0xf534ddc0, v28, v[22:23]
	s_delay_alu instid0(VALU_DEP_1) | instskip(SKIP_1) | instid1(VALU_DEP_3)
	v_mov_b32_e32 v26, v23
	v_cmp_eq_u32_e64 s7, 0, v0
	v_dual_sub_nc_u32 v0, 32, v0 :: v_dual_cndmask_b32 v6, v22, v6, s4
	v_mov_b32_e32 v23, v29
	s_delay_alu instid0(VALU_DEP_4) | instskip(NEXT) | instid1(VALU_DEP_1)
	v_mad_nc_u64_u32 v[26:27], 0xfc2757d1, v28, v[26:27]
	v_dual_mov_b32 v32, v27 :: v_dual_mov_b32 v27, v29
	s_delay_alu instid0(VALU_DEP_1) | instskip(NEXT) | instid1(VALU_DEP_1)
	v_mad_nc_u64_u32 v[32:33], 0x4e441529, v28, v[32:33]
	v_dual_mov_b32 v34, v33 :: v_dual_mov_b32 v33, v29
	s_delay_alu instid0(VALU_DEP_1) | instskip(NEXT) | instid1(VALU_DEP_3)
	v_mad_nc_u64_u32 v[34:35], 0xa2f9836e, v28, v[34:35]
	v_cndmask_b32_e64 v3, v32, v22, s4
	v_and_or_b32 v28, v122, s49, 0x800000
	s_delay_alu instid0(VALU_DEP_3) | instskip(NEXT) | instid1(VALU_DEP_1)
	v_dual_cndmask_b32 v7, v35, v32, s4 :: v_dual_cndmask_b32 v4, v34, v26, s4
	v_dual_mov_b32 v35, v29 :: v_dual_cndmask_b32 v5, v4, v3, s5
	s_delay_alu instid0(VALU_DEP_2) | instskip(SKIP_1) | instid1(VALU_DEP_2)
	v_dual_cndmask_b32 v4, v7, v4, s5 :: v_dual_cndmask_b32 v7, v26, v18, s4
	v_cmp_class_f32_e64 s4, v74, 0x1f8
	v_dual_cndmask_b32 v4, v4, v5, s6 :: v_dual_cndmask_b32 v3, v3, v7, s5
	s_delay_alu instid0(VALU_DEP_1) | instskip(NEXT) | instid1(VALU_DEP_1)
	v_dual_cndmask_b32 v5, v5, v3, s6 :: v_dual_cndmask_b32 v7, v7, v6, s5
	v_alignbit_b32 v12, v4, v5, v0
	s_delay_alu instid0(VALU_DEP_1) | instskip(NEXT) | instid1(VALU_DEP_1)
	v_dual_cndmask_b32 v4, v12, v4, s7 :: v_dual_cndmask_b32 v3, v3, v7, s6
	v_lshrrev_b32_e32 v14, 29, v4
	v_bfe_u32 v19, v4, 29, 1
	s_delay_alu instid0(VALU_DEP_3) | instskip(NEXT) | instid1(VALU_DEP_2)
	v_alignbit_b32 v12, v5, v3, v0
	v_dual_cndmask_b32 v2, v6, v2, s5 :: v_dual_sub_nc_u32 v22, 0, v19
	s_delay_alu instid0(VALU_DEP_1) | instskip(NEXT) | instid1(VALU_DEP_1)
	v_dual_cndmask_b32 v5, v12, v5, s7 :: v_dual_cndmask_b32 v2, v7, v2, s6
	v_alignbit_b32 v12, v4, v5, 30
	s_delay_alu instid0(VALU_DEP_2) | instskip(NEXT) | instid1(VALU_DEP_2)
	v_alignbit_b32 v0, v3, v2, v0
	v_xor_b32_e32 v12, v12, v22
	s_delay_alu instid0(VALU_DEP_2) | instskip(NEXT) | instid1(VALU_DEP_1)
	v_cndmask_b32_e64 v0, v0, v3, s7
	v_alignbit_b32 v3, v5, v0, 30
	s_delay_alu instid0(VALU_DEP_3) | instskip(SKIP_1) | instid1(VALU_DEP_3)
	v_clz_i32_u32_e32 v5, v12
	v_alignbit_b32 v0, v0, v2, 30
	v_xor_b32_e32 v3, v3, v22
	s_delay_alu instid0(VALU_DEP_3) | instskip(NEXT) | instid1(VALU_DEP_1)
	v_min_u32_e32 v5, 32, v5
	v_dual_sub_nc_u32 v6, 31, v5 :: v_dual_bitop2_b32 v0, v0, v22 bitop3:0x14
	s_delay_alu instid0(VALU_DEP_1) | instskip(NEXT) | instid1(VALU_DEP_2)
	v_alignbit_b32 v7, v12, v3, v6
	v_alignbit_b32 v0, v3, v0, v6
	s_delay_alu instid0(VALU_DEP_1) | instskip(NEXT) | instid1(VALU_DEP_1)
	v_alignbit_b32 v2, v7, v0, 9
	v_clz_i32_u32_e32 v3, v2
	s_delay_alu instid0(VALU_DEP_1) | instskip(NEXT) | instid1(VALU_DEP_1)
	v_min_u32_e32 v3, 32, v3
	v_not_b32_e32 v6, v3
	v_add_lshl_u32 v3, v3, v5, 23
	v_lshlrev_b32_e32 v5, 23, v5
	s_delay_alu instid0(VALU_DEP_3) | instskip(NEXT) | instid1(VALU_DEP_1)
	v_alignbit_b32 v0, v2, v0, v6
	v_dual_lshrrev_b32 v0, 9, v0 :: v_dual_lshlrev_b32 v2, 31, v14
	s_delay_alu instid0(VALU_DEP_1) | instskip(NEXT) | instid1(VALU_DEP_1)
	v_or_b32_e32 v6, 0x33000000, v2
	v_sub_nc_u32_e32 v3, v6, v3
	s_delay_alu instid0(VALU_DEP_1) | instskip(SKIP_1) | instid1(VALU_DEP_1)
	v_or_b32_e32 v0, v3, v0
	v_dual_lshrrev_b32 v3, 9, v7 :: v_dual_bitop2_b32 v2, 0.5, v2 bitop3:0x54
	v_dual_mov_b32 v7, v29 :: v_dual_sub_nc_u32 v2, v2, v5
	s_delay_alu instid0(VALU_DEP_1) | instskip(NEXT) | instid1(VALU_DEP_1)
	v_or_b32_e32 v2, v3, v2
	v_mul_f32_e32 v3, 0x3fc90fda, v2
	s_delay_alu instid0(VALU_DEP_1) | instskip(NEXT) | instid1(VALU_DEP_1)
	v_fma_f32 v5, 0x3fc90fda, v2, -v3
	v_dual_fmac_f32 v5, 0x33a22168, v2 :: v_dual_lshrrev_b32 v2, 30, v4
	s_delay_alu instid0(VALU_DEP_1) | instskip(SKIP_1) | instid1(VALU_DEP_1)
	v_dual_fmac_f32 v5, 0x3fc90fda, v0 :: v_dual_add_nc_u32 v12, v19, v2
	v_mul_f32_e64 v2, 0x3f22f983, |v74|
	v_rndne_f32_e32 v2, v2
	s_delay_alu instid0(VALU_DEP_1) | instskip(SKIP_1) | instid1(VALU_DEP_2)
	v_fma_f32 v14, 0xbfc90fda, v2, |v74|
	v_cvt_i32_f32_e32 v19, v2
	v_fmac_f32_e32 v14, 0xb3a22168, v2
	s_delay_alu instid0(VALU_DEP_1) | instskip(SKIP_1) | instid1(VALU_DEP_1)
	v_fmac_f32_e32 v14, 0xa7c234c4, v2
	v_dual_lshrrev_b32 v2, 23, v122 :: v_dual_add_f32 v0, v3, v5
	v_add_nc_u32_e32 v2, 0xffffff88, v2
	s_delay_alu instid0(VALU_DEP_1) | instskip(NEXT) | instid1(VALU_DEP_1)
	v_cmp_lt_u32_e64 s5, 63, v2
	v_cndmask_b32_e64 v3, 0, 0xffffffc0, s5
	s_delay_alu instid0(VALU_DEP_1) | instskip(NEXT) | instid1(VALU_DEP_1)
	v_add_nc_u32_e32 v2, v3, v2
	v_cmp_lt_u32_e64 s6, 31, v2
	s_delay_alu instid0(VALU_DEP_1) | instskip(NEXT) | instid1(VALU_DEP_1)
	v_cndmask_b32_e64 v3, 0, 0xffffffe0, s6
	v_add_nc_u32_e32 v2, v3, v2
	s_delay_alu instid0(VALU_DEP_1) | instskip(NEXT) | instid1(VALU_DEP_1)
	v_cmp_lt_u32_e64 s7, 31, v2
	v_cndmask_b32_e64 v3, 0, 0xffffffe0, s7
	s_delay_alu instid0(VALU_DEP_1) | instskip(SKIP_1) | instid1(VALU_DEP_1)
	v_add_nc_u32_e32 v4, v3, v2
	v_mul_u64_e32 v[2:3], s[34:35], v[28:29]
	v_mov_b32_e32 v6, v3
	s_delay_alu instid0(VALU_DEP_1) | instskip(NEXT) | instid1(VALU_DEP_1)
	v_mad_nc_u64_u32 v[6:7], 0x3c439041, v28, v[6:7]
	v_mov_b32_e32 v22, v7
	s_delay_alu instid0(VALU_DEP_1) | instskip(NEXT) | instid1(VALU_DEP_1)
	v_mad_nc_u64_u32 v[22:23], 0xdb629599, v28, v[22:23]
	v_dual_mov_b32 v26, v23 :: v_dual_cndmask_b32 v2, v22, v2, s5
	s_delay_alu instid0(VALU_DEP_1) | instskip(NEXT) | instid1(VALU_DEP_1)
	v_mad_nc_u64_u32 v[26:27], 0xf534ddc0, v28, v[26:27]
	v_dual_mov_b32 v32, v27 :: v_dual_cndmask_b32 v6, v26, v6, s5
	s_delay_alu instid0(VALU_DEP_1) | instskip(NEXT) | instid1(VALU_DEP_1)
	v_mad_nc_u64_u32 v[32:33], 0xfc2757d1, v28, v[32:33]
	v_mov_b32_e32 v34, v33
	s_delay_alu instid0(VALU_DEP_1) | instskip(NEXT) | instid1(VALU_DEP_1)
	v_mad_nc_u64_u32 v[34:35], 0x4e441529, v28, v[34:35]
	v_dual_cndmask_b32 v3, v34, v26, s5 :: v_dual_mov_b32 v42, v35
	s_delay_alu instid0(VALU_DEP_1) | instskip(NEXT) | instid1(VALU_DEP_1)
	v_mad_nc_u64_u32 v[42:43], 0xa2f9836e, v28, v[42:43]
	v_cndmask_b32_e64 v5, v42, v32, s5
	v_cmp_eq_u32_e64 s8, 0, v4
	s_delay_alu instid0(VALU_DEP_2) | instskip(NEXT) | instid1(VALU_DEP_4)
	v_dual_sub_nc_u32 v4, 32, v4 :: v_dual_cndmask_b32 v7, v5, v3, s6
	v_cndmask_b32_e64 v18, v43, v34, s5
	s_delay_alu instid0(VALU_DEP_1) | instskip(SKIP_1) | instid1(VALU_DEP_2)
	v_dual_cndmask_b32 v5, v18, v5, s6 :: v_dual_cndmask_b32 v18, v32, v22, s5
	v_cmp_class_f32_e64 s5, v121, 0x1f8
	v_dual_cndmask_b32 v5, v5, v7, s7 :: v_dual_cndmask_b32 v3, v3, v18, s6
	s_delay_alu instid0(VALU_DEP_1) | instskip(NEXT) | instid1(VALU_DEP_1)
	v_dual_cndmask_b32 v18, v18, v6, s6 :: v_dual_cndmask_b32 v7, v7, v3, s7
	v_alignbit_b32 v23, v5, v7, v4
	s_delay_alu instid0(VALU_DEP_1) | instskip(NEXT) | instid1(VALU_DEP_1)
	v_cndmask_b32_e64 v5, v23, v5, s8
	v_dual_cndmask_b32 v3, v3, v18, s7 :: v_dual_lshrrev_b32 v26, 29, v5
	v_bfe_u32 v27, v5, 29, 1
	s_delay_alu instid0(VALU_DEP_2) | instskip(NEXT) | instid1(VALU_DEP_2)
	v_alignbit_b32 v23, v7, v3, v4
	v_dual_cndmask_b32 v2, v6, v2, s6 :: v_dual_sub_nc_u32 v28, 0, v27
	s_delay_alu instid0(VALU_DEP_1) | instskip(NEXT) | instid1(VALU_DEP_1)
	v_dual_cndmask_b32 v7, v23, v7, s8 :: v_dual_cndmask_b32 v2, v18, v2, s7
	v_alignbit_b32 v23, v5, v7, 30
	s_delay_alu instid0(VALU_DEP_2) | instskip(NEXT) | instid1(VALU_DEP_1)
	v_alignbit_b32 v4, v3, v2, v4
	v_dual_cndmask_b32 v3, v4, v3, s8 :: v_dual_bitop2_b32 v23, v23, v28 bitop3:0x14
	s_delay_alu instid0(VALU_DEP_1) | instskip(NEXT) | instid1(VALU_DEP_2)
	v_clz_i32_u32_e32 v6, v23
	v_alignbit_b32 v4, v7, v3, 30
	s_delay_alu instid0(VALU_DEP_2) | instskip(NEXT) | instid1(VALU_DEP_2)
	v_min_u32_e32 v6, 32, v6
	v_xor_b32_e32 v4, v4, v28
	v_alignbit_b32 v2, v3, v2, 30
	s_delay_alu instid0(VALU_DEP_1) | instskip(NEXT) | instid1(VALU_DEP_1)
	v_dual_sub_nc_u32 v7, 31, v6 :: v_dual_bitop2_b32 v2, v2, v28 bitop3:0x14
	v_alignbit_b32 v18, v23, v4, v7
	s_delay_alu instid0(VALU_DEP_2) | instskip(NEXT) | instid1(VALU_DEP_1)
	v_alignbit_b32 v2, v4, v2, v7
	v_alignbit_b32 v3, v18, v2, 9
	s_delay_alu instid0(VALU_DEP_1) | instskip(NEXT) | instid1(VALU_DEP_1)
	v_clz_i32_u32_e32 v4, v3
	v_min_u32_e32 v4, 32, v4
	s_delay_alu instid0(VALU_DEP_1) | instskip(SKIP_1) | instid1(VALU_DEP_2)
	v_not_b32_e32 v7, v4
	v_add_lshl_u32 v4, v4, v6, 23
	v_alignbit_b32 v2, v3, v2, v7
	v_lshlrev_b32_e32 v3, 31, v26
	s_delay_alu instid0(VALU_DEP_1) | instskip(NEXT) | instid1(VALU_DEP_3)
	v_or_b32_e32 v7, 0x33000000, v3
	v_dual_lshrrev_b32 v2, 9, v2 :: v_dual_bitop2_b32 v3, 0.5, v3 bitop3:0x54
	s_delay_alu instid0(VALU_DEP_2) | instskip(NEXT) | instid1(VALU_DEP_1)
	v_sub_nc_u32_e32 v4, v7, v4
	v_or_b32_e32 v2, v4, v2
	v_lshrrev_b32_e32 v4, 9, v18
	v_lshlrev_b32_e32 v6, 23, v6
	s_delay_alu instid0(VALU_DEP_1) | instskip(NEXT) | instid1(VALU_DEP_1)
	v_sub_nc_u32_e32 v3, v3, v6
	v_or_b32_e32 v3, v4, v3
	s_delay_alu instid0(VALU_DEP_1) | instskip(NEXT) | instid1(VALU_DEP_1)
	v_mul_f32_e32 v4, 0x3fc90fda, v3
	v_fma_f32 v6, 0x3fc90fda, v3, -v4
	s_delay_alu instid0(VALU_DEP_1) | instskip(NEXT) | instid1(VALU_DEP_1)
	v_fmac_f32_e32 v6, 0x33a22168, v3
	v_fmac_f32_e32 v6, 0x3fc90fda, v2
	v_lshrrev_b32_e32 v2, 30, v5
	s_delay_alu instid0(VALU_DEP_1) | instskip(SKIP_1) | instid1(VALU_DEP_4)
	v_add_nc_u32_e32 v33, v27, v2
	v_mul_f32_e64 v2, 0x3f22f983, |v121|
	v_add_f32_e32 v32, v4, v6
	s_delay_alu instid0(VALU_DEP_2) | instskip(NEXT) | instid1(VALU_DEP_1)
	v_rndne_f32_e32 v2, v2
	v_fma_f32 v34, 0xbfc90fda, v2, |v121|
	v_cvt_i32_f32_e32 v35, v2
	s_delay_alu instid0(VALU_DEP_2) | instskip(NEXT) | instid1(VALU_DEP_1)
	v_fmac_f32_e32 v34, 0xb3a22168, v2
	v_fmac_f32_e32 v34, 0xa7c234c4, v2
	scratch_load_b64 v[2:3], off, off offset:44 ; 8-byte Folded Reload
	s_wait_loadcnt 0x0
	v_pk_add_f32 v[2:3], v[2:3], v[76:77]
	v_and_b32_e32 v77, 0x7fffffff, v85
	v_and_b32_e32 v76, 0x7fffffff, v84
	s_delay_alu instid0(VALU_DEP_3)
	v_frexp_mant_f32_e64 v5, |v3|
	v_cvt_f64_f32_e64 v[6:7], |v3|
	v_bfi_b32 v4, 0x7fffffff, 0, v3
	v_cmp_eq_f32_e64 s6, |v3|, |v9|
	v_cmp_gt_f32_e64 s19, |v3|, |v9|
	v_ldexp_f32 v124, v5, 12
	scratch_load_b32 v5, off, off offset:16 ; 4-byte Folded Reload
	v_cmp_eq_f32_e64 s8, |v2|, |v8|
	v_cndmask_b32_e64 v123, v3, v4, s6
	v_and_b32_e32 v126, 0x80000000, v3
	v_cmp_class_f32_e64 s7, v3, 0x1f8
	v_bfi_b32 v3, 0x7fffffff, 0, v2
	v_cmp_gt_f32_e64 s20, |v2|, |v8|
	v_and_b32_e32 v26, 0x80000000, v2
	v_cmp_class_f32_e64 s9, v2, 0x1f8
	v_and_or_b32 v28, v77, s49, 0x800000
	v_cndmask_b32_e64 v127, v2, v3, s8
	s_and_b32 s7, s1, s7
	s_and_b32 s9, s3, s9
	s_delay_alu instid0(VALU_DEP_2) | instskip(SKIP_2) | instid1(VALU_DEP_1)
	v_mul_u64_e32 v[86:87], s[34:35], v[28:29]
	v_frexp_exp_i32_f64_e32 v4, v[6:7]
	v_cvt_f64_f32_e64 v[6:7], |v2|
	v_frexp_exp_i32_f64_e32 v3, v[6:7]
	s_wait_loadcnt 0x0
	s_delay_alu instid0(VALU_DEP_3) | instskip(SKIP_2) | instid1(VALU_DEP_3)
	v_sub_nc_u32_e32 v125, v4, v5
	v_frexp_mant_f32_e64 v4, |v2|
	v_sub_f32_e32 v2, 1.0, v36
	v_cmp_lt_i32_e64 s6, 12, v125
	s_delay_alu instid0(VALU_DEP_3) | instskip(SKIP_2) | instid1(VALU_DEP_1)
	v_ldexp_f32 v101, v4, 12
	scratch_load_b32 v4, off, off offset:12 ; 4-byte Folded Reload
	v_dual_mul_f32 v27, v2, v40 :: v_dual_lshrrev_b32 v2, 23, v77
	v_add_nc_u32_e32 v2, 0xffffff88, v2
	s_delay_alu instid0(VALU_DEP_1) | instskip(SKIP_2) | instid1(VALU_DEP_2)
	v_cmp_lt_u32_e64 s11, 63, v2
	s_wait_loadcnt 0x0
	v_sub_nc_u32_e32 v102, v3, v4
	v_cndmask_b32_e64 v3, 0, 0xffffffc0, s11
	s_delay_alu instid0(VALU_DEP_2) | instskip(NEXT) | instid1(VALU_DEP_2)
	v_cmp_lt_i32_e64 s8, 12, v102
	v_add_nc_u32_e32 v2, v3, v2
	s_delay_alu instid0(VALU_DEP_1) | instskip(NEXT) | instid1(VALU_DEP_1)
	v_cmp_lt_u32_e64 s13, 31, v2
	v_cndmask_b32_e64 v3, 0, 0xffffffe0, s13
	s_delay_alu instid0(VALU_DEP_1) | instskip(SKIP_1) | instid1(VALU_DEP_1)
	v_add_nc_u32_e32 v88, v3, v2
	v_dual_mov_b32 v2, v87 :: v_dual_mov_b32 v3, v29
	v_mad_nc_u64_u32 v[6:7], 0x3c439041, v28, v[2:3]
	s_delay_alu instid0(VALU_DEP_1) | instskip(NEXT) | instid1(VALU_DEP_1)
	v_mov_b32_e32 v2, v7
	v_mad_nc_u64_u32 v[22:23], 0xdb629599, v28, v[2:3]
	s_delay_alu instid0(VALU_DEP_1) | instskip(NEXT) | instid1(VALU_DEP_1)
	v_mov_b32_e32 v2, v23
	v_mad_nc_u64_u32 v[42:43], 0xf534ddc0, v28, v[2:3]
	s_delay_alu instid0(VALU_DEP_1) | instskip(NEXT) | instid1(VALU_DEP_1)
	v_dual_cndmask_b32 v5, v42, v6, s11 :: v_dual_mov_b32 v2, v43
	v_mad_nc_u64_u32 v[90:91], 0xfc2757d1, v28, v[2:3]
	s_delay_alu instid0(VALU_DEP_1) | instskip(SKIP_1) | instid1(VALU_DEP_2)
	v_dual_mov_b32 v2, v91 :: v_dual_cndmask_b32 v4, v90, v22, s11
	v_dual_mov_b32 v91, v29 :: v_dual_cndmask_b32 v106, v32, v34, s10
	v_mad_nc_u64_u32 v[92:93], 0x4e441529, v28, v[2:3]
	s_delay_alu instid0(VALU_DEP_1) | instskip(NEXT) | instid1(VALU_DEP_2)
	v_dual_cndmask_b32 v6, v4, v5, s13 :: v_dual_mov_b32 v2, v93
	v_dual_cndmask_b32 v7, v92, v42, s11 :: v_dual_mov_b32 v93, v29
	v_cmp_lt_u32_e64 s17, 31, v88
	s_delay_alu instid0(VALU_DEP_3) | instskip(SKIP_1) | instid1(VALU_DEP_4)
	v_mad_nc_u64_u32 v[2:3], 0xa2f9836e, v28, v[2:3]
	v_and_or_b32 v28, v76, s49, 0x800000
	v_dual_cndmask_b32 v81, v7, v4, s13 :: v_dual_cndmask_b32 v4, v22, v86, s11
	s_delay_alu instid0(VALU_DEP_2) | instskip(NEXT) | instid1(VALU_DEP_2)
	v_mul_u64_e32 v[86:87], s[34:35], v[28:29]
	v_cndmask_b32_e64 v22, v5, v4, s13
	v_dual_lshrrev_b32 v4, 23, v76 :: v_dual_cndmask_b32 v2, v2, v90, s11
	s_delay_alu instid0(VALU_DEP_1) | instskip(NEXT) | instid1(VALU_DEP_1)
	v_dual_cndmask_b32 v3, v3, v92, s11 :: v_dual_cndmask_b32 v7, v2, v7, s13
	v_cndmask_b32_e64 v2, v3, v2, s13
	v_cmp_gt_f32_e64 s13, 0x48000000, |v84|
	s_delay_alu instid0(VALU_DEP_2) | instskip(SKIP_1) | instid1(VALU_DEP_2)
	v_dual_cndmask_b32 v2, v2, v7, s17 :: v_dual_mov_b32 v90, v87
	v_add_nc_u32_e32 v4, 0xffffff88, v4
	v_mad_nc_u64_u32 v[90:91], 0x3c439041, v28, v[90:91]
	s_delay_alu instid0(VALU_DEP_2) | instskip(NEXT) | instid1(VALU_DEP_1)
	v_cmp_lt_u32_e64 s11, 63, v4
	v_cndmask_b32_e64 v5, 0, 0xffffffc0, s11
	s_delay_alu instid0(VALU_DEP_1) | instskip(NEXT) | instid1(VALU_DEP_1)
	v_dual_add_nc_u32 v4, v5, v4 :: v_dual_mov_b32 v92, v91
	v_cmp_lt_u32_e64 s15, 31, v4
	s_delay_alu instid0(VALU_DEP_2) | instskip(NEXT) | instid1(VALU_DEP_2)
	v_mad_nc_u64_u32 v[92:93], 0xdb629599, v28, v[92:93]
	v_cndmask_b32_e64 v5, 0, 0xffffffe0, s15
	s_delay_alu instid0(VALU_DEP_2) | instskip(NEXT) | instid1(VALU_DEP_1)
	v_mov_b32_e32 v94, v93
	v_mad_nc_u64_u32 v[94:95], 0xf534ddc0, v28, v[94:95]
	s_delay_alu instid0(VALU_DEP_3) | instskip(NEXT) | instid1(VALU_DEP_2)
	v_add_nc_u32_e32 v42, v5, v4
	v_dual_mov_b32 v5, v29 :: v_dual_mov_b32 v96, v95
	s_delay_alu instid0(VALU_DEP_3) | instskip(NEXT) | instid1(VALU_DEP_3)
	v_cndmask_b32_e64 v23, v94, v90, s11
	v_cmp_lt_u32_e64 s14, 31, v42
	s_delay_alu instid0(VALU_DEP_3) | instskip(NEXT) | instid1(VALU_DEP_1)
	v_mad_nc_u64_u32 v[96:97], 0xfc2757d1, v28, v[96:97]
	v_mov_b32_e32 v4, v97
	s_delay_alu instid0(VALU_DEP_1) | instskip(NEXT) | instid1(VALU_DEP_1)
	v_mad_nc_u64_u32 v[48:49], 0x4e441529, v28, v[4:5]
	v_dual_cndmask_b32 v87, v48, v94, s11 :: v_dual_mov_b32 v4, v49
	s_delay_alu instid0(VALU_DEP_1) | instskip(SKIP_1) | instid1(VALU_DEP_1)
	v_mad_nc_u64_u32 v[4:5], 0xa2f9836e, v28, v[4:5]
	v_cndmask_b32_e64 v28, 0, 0xffffffe0, s14
	v_dual_add_nc_u32 v28, v28, v42 :: v_dual_cndmask_b32 v43, v5, v48, s11
	v_cndmask_b32_e64 v5, v96, v92, s11
	s_delay_alu instid0(VALU_DEP_4) | instskip(NEXT) | instid1(VALU_DEP_3)
	v_cndmask_b32_e64 v4, v4, v96, s11
	v_sub_nc_u32_e32 v42, 32, v28
	v_cmp_eq_u32_e64 s16, 0, v28
	s_delay_alu instid0(VALU_DEP_4) | instskip(SKIP_4) | instid1(VALU_DEP_4)
	v_dual_cndmask_b32 v83, v87, v5, s15 :: v_dual_cndmask_b32 v18, v5, v23, s15
	v_cndmask_b32_e64 v5, v92, v86, s11
	v_dual_cndmask_b32 v86, v81, v6, s17 :: v_dual_cndmask_b32 v48, v4, v87, s15
	v_cndmask_b32_e64 v81, v7, v81, s17
	v_cndmask_b32_e64 v3, v43, v4, s15
	;; [unrolled: 1-line block ×4, first 2 shown]
	v_dual_cndmask_b32 v49, v48, v83, s14 :: v_dual_cndmask_b32 v6, v6, v22, s17
	s_delay_alu instid0(VALU_DEP_4) | instskip(SKIP_1) | instid1(VALU_DEP_4)
	v_cndmask_b32_e64 v3, v3, v48, s14
	v_cmp_class_f32_e64 s11, v84, 0x1f8
	v_add_nc_u32_e32 v5, v5, v88
	s_delay_alu instid0(VALU_DEP_3) | instskip(NEXT) | instid1(VALU_DEP_2)
	v_alignbit_b32 v7, v3, v49, v42
	v_sub_nc_u32_e32 v87, 32, v5
	v_cmp_eq_u32_e64 s18, 0, v5
	s_delay_alu instid0(VALU_DEP_2) | instskip(SKIP_3) | instid1(VALU_DEP_4)
	v_alignbit_b32 v88, v81, v86, v87
	v_alignbit_b32 v4, v2, v81, v87
	v_cndmask_b32_e64 v28, v7, v3, s16
	v_alignbit_b32 v22, v86, v6, v87
	v_cndmask_b32_e64 v5, v88, v81, s18
	s_delay_alu instid0(VALU_DEP_3) | instskip(NEXT) | instid1(VALU_DEP_1)
	v_dual_cndmask_b32 v2, v4, v2, s18 :: v_dual_lshrrev_b32 v4, 30, v28
	v_lshrrev_b32_e32 v7, 29, v2
	s_delay_alu instid0(VALU_DEP_3) | instskip(SKIP_2) | instid1(VALU_DEP_2)
	v_alignbit_b32 v3, v2, v5, 30
	v_bfe_i32 v43, v2, 29, 1
	v_cndmask_b32_e64 v22, v22, v86, s18
	v_dual_lshrrev_b32 v2, 30, v2 :: v_dual_bitop2_b32 v3, v3, v43 bitop3:0x14
	s_delay_alu instid0(VALU_DEP_2) | instskip(NEXT) | instid1(VALU_DEP_2)
	v_alignbit_b32 v5, v5, v22, 30
	v_clz_i32_u32_e32 v48, v3
	s_delay_alu instid0(VALU_DEP_2) | instskip(SKIP_1) | instid1(VALU_DEP_3)
	v_xor_b32_e32 v5, v5, v43
	v_alignbit_b32 v6, v22, v6, 30
	v_min_u32_e32 v48, 32, v48
	s_delay_alu instid0(VALU_DEP_1) | instskip(NEXT) | instid1(VALU_DEP_1)
	v_dual_sub_nc_u32 v81, 31, v48 :: v_dual_bitop2_b32 v6, v6, v43 bitop3:0x14
	v_alignbit_b32 v3, v3, v5, v81
	s_delay_alu instid0(VALU_DEP_2) | instskip(NEXT) | instid1(VALU_DEP_2)
	v_alignbit_b32 v5, v5, v6, v81
	v_lshrrev_b32_e32 v81, 9, v3
	s_delay_alu instid0(VALU_DEP_2) | instskip(NEXT) | instid1(VALU_DEP_1)
	v_alignbit_b32 v6, v3, v5, 9
	v_clz_i32_u32_e32 v22, v6
	s_delay_alu instid0(VALU_DEP_1) | instskip(NEXT) | instid1(VALU_DEP_1)
	v_min_u32_e32 v22, 32, v22
	v_not_b32_e32 v43, v22
	v_add_lshl_u32 v22, v22, v48, 23
	s_delay_alu instid0(VALU_DEP_2) | instskip(NEXT) | instid1(VALU_DEP_1)
	v_alignbit_b32 v5, v6, v5, v43
	v_dual_lshrrev_b32 v6, 9, v5 :: v_dual_lshlrev_b32 v5, 31, v7
	s_delay_alu instid0(VALU_DEP_1) | instskip(SKIP_2) | instid1(VALU_DEP_3)
	v_or_b32_e32 v43, 0x33000000, v5
	v_dual_lshlrev_b32 v5, 23, v48 :: v_dual_bitop2_b32 v3, 0.5, v5 bitop3:0x54
	v_dual_cndmask_b32 v48, v83, v18, s14 :: v_dual_cndmask_b32 v18, v18, v23, s14
	v_sub_nc_u32_e32 v22, v43, v22
	v_bfe_i32 v43, v28, 29, 1
	s_delay_alu instid0(VALU_DEP_4) | instskip(NEXT) | instid1(VALU_DEP_4)
	v_sub_nc_u32_e32 v5, v3, v5
	v_alignbit_b32 v3, v49, v48, v42
	v_cmp_gt_f32_e64 s14, 0x48000000, |v85|
	s_delay_alu instid0(VALU_DEP_3) | instskip(NEXT) | instid1(VALU_DEP_3)
	v_or_b32_e32 v91, v81, v5
	v_dual_cndmask_b32 v49, v3, v49, s16 :: v_dual_lshrrev_b32 v3, 29, v28
	v_alignbit_b32 v23, v48, v18, v42
	v_mul_f32_e64 v5, 0x3f22f983, |v85|
	s_delay_alu instid0(VALU_DEP_3) | instskip(NEXT) | instid1(VALU_DEP_3)
	v_alignbit_b32 v83, v28, v49, 30
	v_cndmask_b32_e64 v23, v23, v48, s16
	s_delay_alu instid0(VALU_DEP_2) | instskip(NEXT) | instid1(VALU_DEP_2)
	v_xor_b32_e32 v28, v83, v43
	v_alignbit_b32 v42, v49, v23, 30
	s_delay_alu instid0(VALU_DEP_2) | instskip(NEXT) | instid1(VALU_DEP_2)
	v_clz_i32_u32_e32 v48, v28
	v_xor_b32_e32 v42, v42, v43
	s_delay_alu instid0(VALU_DEP_2) | instskip(NEXT) | instid1(VALU_DEP_1)
	v_min_u32_e32 v48, 32, v48
	v_dual_sub_nc_u32 v49, 31, v48 :: v_dual_lshlrev_b32 v88, 23, v48
	s_delay_alu instid0(VALU_DEP_1) | instskip(NEXT) | instid1(VALU_DEP_1)
	v_alignbit_b32 v28, v28, v42, v49
	v_dual_lshlrev_b32 v83, 31, v3 :: v_dual_lshrrev_b32 v86, 9, v28
	s_delay_alu instid0(VALU_DEP_1) | instskip(NEXT) | instid1(VALU_DEP_1)
	v_or_b32_e32 v87, 0.5, v83
	v_sub_nc_u32_e32 v87, v87, v88
	s_delay_alu instid0(VALU_DEP_1) | instskip(SKIP_2) | instid1(VALU_DEP_1)
	v_or_b32_e32 v90, v86, v87
	v_rndne_f32_e32 v87, v5
	v_alignbit_b32 v5, v23, v18, 30
	v_xor_b32_e32 v5, v5, v43
	s_delay_alu instid0(VALU_DEP_1) | instskip(SKIP_1) | instid1(VALU_DEP_2)
	v_alignbit_b32 v5, v42, v5, v49
	v_mov_b32_e32 v49, v29
	v_alignbit_b32 v18, v28, v5, 9
	s_delay_alu instid0(VALU_DEP_1) | instskip(NEXT) | instid1(VALU_DEP_1)
	v_clz_i32_u32_e32 v23, v18
	v_min_u32_e32 v23, 32, v23
	s_delay_alu instid0(VALU_DEP_1) | instskip(SKIP_1) | instid1(VALU_DEP_2)
	v_not_b32_e32 v28, v23
	v_add_lshl_u32 v23, v23, v48, 23
	v_alignbit_b32 v5, v18, v5, v28
	v_or_b32_e32 v18, 0x33000000, v83
	v_add_nc_u32_e32 v28, v2, v7
	v_mul_f32_e64 v2, 0x3f22f983, |v84|
	s_delay_alu instid0(VALU_DEP_4) | instskip(SKIP_2) | instid1(VALU_DEP_4)
	v_lshrrev_b32_e32 v5, 9, v5
	v_pk_mul_f32 v[88:89], v[90:91], s[44:45] op_sel_hi:[1,0]
	v_sub_nc_u32_e32 v18, v18, v23
	v_rndne_f32_e32 v86, v2
	v_or_b32_e32 v23, v22, v6
	s_delay_alu instid0(VALU_DEP_4) | instskip(NEXT) | instid1(VALU_DEP_4)
	v_pk_fma_f32 v[42:43], v[90:91], s[44:45], v[88:89] op_sel_hi:[1,0,1] neg_lo:[0,0,1] neg_hi:[0,0,1]
	v_dual_add_nc_u32 v18, v3, v4 :: v_dual_bitop2_b32 v22, v18, v5 bitop3:0x54
	s_delay_alu instid0(VALU_DEP_4) | instskip(NEXT) | instid1(VALU_DEP_3)
	v_pk_fma_f32 v[2:3], v[86:87], s[48:49], v[76:77] op_sel_hi:[1,0,1]
	v_pk_fma_f32 v[42:43], v[90:91], s[46:47], v[42:43] op_sel_hi:[1,0,1]
	s_delay_alu instid0(VALU_DEP_2) | instskip(NEXT) | instid1(VALU_DEP_2)
	v_pk_fma_f32 v[2:3], v[86:87], s[50:51], v[2:3] op_sel_hi:[1,0,1]
	v_pk_fma_f32 v[22:23], v[22:23], s[44:45], v[42:43] op_sel_hi:[1,0,1]
	v_cvt_i32_f32_e32 v42, v86
	v_cvt_i32_f32_e32 v43, v87
	s_delay_alu instid0(VALU_DEP_4) | instskip(NEXT) | instid1(VALU_DEP_4)
	v_pk_fma_f32 v[2:3], v[86:87], s[52:53], v[2:3] op_sel_hi:[1,0,1]
	v_pk_add_f32 v[22:23], v[88:89], v[22:23]
	s_delay_alu instid0(VALU_DEP_1) | instskip(NEXT) | instid1(VALU_DEP_2)
	v_dual_cndmask_b32 v18, v18, v42, s13 :: v_dual_cndmask_b32 v3, v23, v3, s14
	v_cndmask_b32_e64 v2, v22, v2, s13
	s_delay_alu instid0(VALU_DEP_2) | instskip(NEXT) | instid1(VALU_DEP_2)
	v_and_b32_e32 v18, 1, v18
	v_pk_mul_f32 v[4:5], v[2:3], v[2:3]
	s_delay_alu instid0(VALU_DEP_2) | instskip(NEXT) | instid1(VALU_DEP_2)
	v_cmp_eq_u32_e64 s13, 0, v18
	v_fmaak_f32 v6, s53, v5, 0xbf039337
	s_delay_alu instid0(VALU_DEP_3) | instskip(NEXT) | instid1(VALU_DEP_2)
	v_pk_fma_f32 v[22:23], v[4:5], s[58:59], s[62:63] op_sel_hi:[1,0,0]
	v_fmaak_f32 v6, v5, v6, 0x3f93f425
	s_delay_alu instid0(VALU_DEP_1) | instskip(SKIP_2) | instid1(VALU_DEP_1)
	v_rcp_f32_e32 v7, v6
	v_nop
	v_fmaak_f32 v6, s53, v4, 0xbf039337
	v_fmaak_f32 v6, v4, v6, 0x3f93f425
	s_delay_alu instid0(VALU_DEP_1) | instskip(SKIP_1) | instid1(TRANS32_DEP_1)
	v_rcp_f32_e32 v6, v6
	v_nop
	v_pk_mul_f32 v[6:7], v[22:23], v[6:7]
	v_cndmask_b32_e64 v22, v28, v43, s14
	s_delay_alu instid0(VALU_DEP_2) | instskip(NEXT) | instid1(VALU_DEP_2)
	v_pk_mul_f32 v[4:5], v[4:5], v[6:7]
	v_and_b32_e32 v28, 1, v22
	s_delay_alu instid0(VALU_DEP_2) | instskip(NEXT) | instid1(VALU_DEP_2)
	v_pk_fma_f32 v[6:7], v[4:5], v[2:3], v[2:3]
	v_cmp_eq_u32_e64 s14, 0, v28
	s_delay_alu instid0(VALU_DEP_2) | instskip(NEXT) | instid1(VALU_DEP_2)
	v_rcp_f32_e32 v23, v7
	v_rcp_f32_e32 v22, v6
	v_pk_add_f32 v[42:43], v[6:7], v[2:3] neg_lo:[0,1] neg_hi:[0,1]
	s_delay_alu instid0(VALU_DEP_1) | instskip(NEXT) | instid1(TRANS32_DEP_1)
	v_pk_fma_f32 v[2:3], v[4:5], v[2:3], v[42:43] neg_lo:[0,0,1] neg_hi:[0,0,1]
	v_pk_fma_f32 v[4:5], v[6:7], v[22:23], 1.0 op_sel_hi:[1,1,0] neg_lo:[0,1,0] neg_hi:[0,1,0]
	v_mov_b32_e32 v43, v29
	s_delay_alu instid0(VALU_DEP_2) | instskip(NEXT) | instid1(VALU_DEP_1)
	v_pk_fma_f32 v[2:3], v[2:3], v[22:23], v[4:5] neg_lo:[0,1,0] neg_hi:[0,1,0]
	v_pk_fma_f32 v[2:3], v[2:3], v[22:23], v[22:23] neg_lo:[0,1,1] neg_hi:[0,1,1]
	s_delay_alu instid0(VALU_DEP_1) | instskip(NEXT) | instid1(VALU_DEP_1)
	v_cndmask_b32_e64 v3, v3, v7, s14
	v_dual_cndmask_b32 v2, v2, v6, s13 :: v_dual_bitop2_b32 v3, v85, v3 bitop3:0x14
	s_delay_alu instid0(VALU_DEP_1) | instskip(NEXT) | instid1(VALU_DEP_2)
	v_xor_b32_e32 v3, v3, v77
	v_xor_b32_e32 v2, v84, v2
	s_delay_alu instid0(VALU_DEP_2) | instskip(NEXT) | instid1(VALU_DEP_2)
	v_cndmask_b32_e64 v18, 0x7fc00000, v3, s12
	v_xor_b32_e32 v2, v2, v76
	s_delay_alu instid0(VALU_DEP_2) | instskip(NEXT) | instid1(VALU_DEP_2)
	v_and_b32_e32 v76, 0x7fffffff, v18
	v_cndmask_b32_e64 v22, 0x7fc00000, v2, s11
	s_delay_alu instid0(VALU_DEP_2) | instskip(SKIP_1) | instid1(VALU_DEP_3)
	v_lshrrev_b32_e32 v2, 23, v76
	v_and_or_b32 v28, v76, s49, 0x800000
	v_and_b32_e32 v77, 0x7fffffff, v22
	s_delay_alu instid0(VALU_DEP_3) | instskip(NEXT) | instid1(VALU_DEP_3)
	v_add_nc_u32_e32 v2, 0xffffff88, v2
	v_mul_u64_e32 v[84:85], s[34:35], v[28:29]
	s_delay_alu instid0(VALU_DEP_2) | instskip(NEXT) | instid1(VALU_DEP_1)
	v_cmp_lt_u32_e64 s14, 63, v2
	v_cndmask_b32_e64 v3, 0, 0xffffffc0, s14
	s_delay_alu instid0(VALU_DEP_1) | instskip(NEXT) | instid1(VALU_DEP_1)
	v_add_nc_u32_e32 v2, v3, v2
	v_cmp_lt_u32_e64 s15, 31, v2
	s_delay_alu instid0(VALU_DEP_1) | instskip(NEXT) | instid1(VALU_DEP_1)
	v_cndmask_b32_e64 v3, 0, 0xffffffe0, s15
	v_add_nc_u32_e32 v2, v3, v2
	s_delay_alu instid0(VALU_DEP_1) | instskip(NEXT) | instid1(VALU_DEP_1)
	v_cmp_lt_u32_e64 s17, 31, v2
	v_cndmask_b32_e64 v3, 0, 0xffffffe0, s17
	s_delay_alu instid0(VALU_DEP_1) | instskip(SKIP_1) | instid1(VALU_DEP_2)
	v_dual_mov_b32 v2, v85 :: v_dual_add_nc_u32 v23, v3, v2
	v_mov_b32_e32 v3, v29
	v_cmp_eq_u32_e64 s18, 0, v23
	s_delay_alu instid0(VALU_DEP_2) | instskip(NEXT) | instid1(VALU_DEP_1)
	v_mad_nc_u64_u32 v[4:5], 0x3c439041, v28, v[2:3]
	v_mov_b32_e32 v2, v5
	s_delay_alu instid0(VALU_DEP_1) | instskip(NEXT) | instid1(VALU_DEP_1)
	v_mad_nc_u64_u32 v[90:91], 0xdb629599, v28, v[2:3]
	v_mov_b32_e32 v2, v91
	s_delay_alu instid0(VALU_DEP_1) | instskip(NEXT) | instid1(VALU_DEP_1)
	;; [unrolled: 3-line block ×4, first 2 shown]
	v_mad_nc_u64_u32 v[42:43], 0x4e441529, v28, v[42:43]
	v_dual_mov_b32 v48, v43 :: v_dual_cndmask_b32 v3, v42, v6, s14
	v_cndmask_b32_e64 v6, v6, v4, s14
	s_delay_alu instid0(VALU_DEP_2) | instskip(NEXT) | instid1(VALU_DEP_1)
	v_mad_nc_u64_u32 v[48:49], 0xa2f9836e, v28, v[48:49]
	v_cndmask_b32_e64 v5, v48, v2, s14
	s_delay_alu instid0(VALU_DEP_2) | instskip(SKIP_1) | instid1(VALU_DEP_2)
	v_cndmask_b32_e64 v7, v49, v42, s14
	v_mov_b32_e32 v49, v29
	v_dual_cndmask_b32 v81, v5, v3, s15 :: v_dual_cndmask_b32 v83, v7, v5, s15
	v_dual_cndmask_b32 v5, v2, v90, s14 :: v_dual_sub_nc_u32 v2, 32, v23
	s_delay_alu instid0(VALU_DEP_1) | instskip(NEXT) | instid1(VALU_DEP_1)
	v_dual_cndmask_b32 v3, v3, v5, s15 :: v_dual_cndmask_b32 v7, v5, v6, s15
	v_dual_lshrrev_b32 v5, 23, v77 :: v_dual_cndmask_b32 v85, v81, v3, s17
	s_delay_alu instid0(VALU_DEP_1) | instskip(NEXT) | instid1(VALU_DEP_1)
	v_add_nc_u32_e32 v5, 0xffffff88, v5
	v_cmp_lt_u32_e64 s16, 63, v5
	s_delay_alu instid0(VALU_DEP_1) | instskip(NEXT) | instid1(VALU_DEP_1)
	v_cndmask_b32_e64 v28, 0, 0xffffffc0, s16
	v_dual_add_nc_u32 v5, v28, v5 :: v_dual_cndmask_b32 v3, v3, v7, s17
	s_delay_alu instid0(VALU_DEP_1) | instskip(NEXT) | instid1(VALU_DEP_2)
	v_cmp_lt_u32_e64 s13, 31, v5
	v_alignbit_b32 v4, v85, v3, v2
	s_delay_alu instid0(VALU_DEP_2) | instskip(NEXT) | instid1(VALU_DEP_2)
	v_cndmask_b32_e64 v28, 0, 0xffffffe0, s13
	v_cndmask_b32_e64 v91, v4, v85, s18
	s_delay_alu instid0(VALU_DEP_2) | instskip(NEXT) | instid1(VALU_DEP_1)
	v_add_nc_u32_e32 v5, v28, v5
	v_cmp_lt_u32_e64 s12, 31, v5
	s_delay_alu instid0(VALU_DEP_1) | instskip(NEXT) | instid1(VALU_DEP_1)
	v_cndmask_b32_e64 v28, 0, 0xffffffe0, s12
	v_dual_mov_b32 v5, v29 :: v_dual_add_nc_u32 v96, v28, v5
	v_and_or_b32 v28, v77, s49, 0x800000
	s_delay_alu instid0(VALU_DEP_2) | instskip(NEXT) | instid1(VALU_DEP_2)
	v_cmp_eq_u32_e64 s11, 0, v96
	v_mul_u64_e32 v[86:87], s[34:35], v[28:29]
	s_delay_alu instid0(VALU_DEP_1) | instskip(NEXT) | instid1(VALU_DEP_1)
	v_mov_b32_e32 v4, v87
	v_mad_nc_u64_u32 v[92:93], 0x3c439041, v28, v[4:5]
	s_delay_alu instid0(VALU_DEP_1) | instskip(NEXT) | instid1(VALU_DEP_1)
	v_mov_b32_e32 v4, v93
	v_mad_nc_u64_u32 v[88:89], 0xdb629599, v28, v[4:5]
	;; [unrolled: 3-line block ×3, first 2 shown]
	s_delay_alu instid0(VALU_DEP_1) | instskip(NEXT) | instid1(VALU_DEP_1)
	v_dual_mov_b32 v43, v29 :: v_dual_mov_b32 v4, v95
	v_mad_nc_u64_u32 v[4:5], 0xfc2757d1, v28, v[4:5]
	s_delay_alu instid0(VALU_DEP_1) | instskip(NEXT) | instid1(VALU_DEP_1)
	v_dual_mov_b32 v42, v5 :: v_dual_cndmask_b32 v99, v4, v88, s16
	v_mad_nc_u64_u32 v[42:43], 0x4e441529, v28, v[42:43]
	s_delay_alu instid0(VALU_DEP_1) | instskip(SKIP_1) | instid1(VALU_DEP_2)
	v_dual_mov_b32 v48, v43 :: v_dual_cndmask_b32 v5, v42, v94, s16
	v_cndmask_b32_e64 v94, v94, v92, s16
	v_mad_nc_u64_u32 v[48:49], 0xa2f9836e, v28, v[48:49]
	s_delay_alu instid0(VALU_DEP_1) | instskip(NEXT) | instid1(VALU_DEP_2)
	v_dual_cndmask_b32 v100, v5, v99, s13 :: v_dual_cndmask_b32 v23, v48, v4, s16
	v_cndmask_b32_e64 v42, v49, v42, s16
	s_delay_alu instid0(VALU_DEP_2) | instskip(NEXT) | instid1(VALU_DEP_2)
	v_dual_mov_b32 v49, v29 :: v_dual_cndmask_b32 v28, v23, v5, s13
	v_dual_cndmask_b32 v23, v42, v23, s13 :: v_dual_cndmask_b32 v42, v83, v81, s17
	s_delay_alu instid0(VALU_DEP_1) | instskip(SKIP_1) | instid1(VALU_DEP_3)
	v_cndmask_b32_e64 v23, v23, v28, s12
	v_sub_nc_u32_e32 v87, 32, v96
	v_alignbit_b32 v5, v42, v85, v2
	v_cndmask_b32_e64 v97, v28, v100, s12
	s_delay_alu instid0(VALU_DEP_1) | instskip(NEXT) | instid1(VALU_DEP_1)
	v_alignbit_b32 v4, v23, v97, v87
	v_dual_cndmask_b32 v4, v4, v23, s11 :: v_dual_cndmask_b32 v23, v5, v42, s18
	s_delay_alu instid0(VALU_DEP_1) | instskip(SKIP_1) | instid1(VALU_DEP_2)
	v_dual_lshrrev_b32 v85, 29, v4 :: v_dual_lshrrev_b32 v42, 29, v23
	v_alignbit_b32 v5, v23, v91, 30
	v_and_b32_e32 v83, 1, v42
	s_delay_alu instid0(VALU_DEP_1) | instskip(NEXT) | instid1(VALU_DEP_1)
	v_dual_sub_nc_u32 v43, 0, v83 :: v_dual_bitop2_b32 v81, 1, v85 bitop3:0x40
	v_dual_sub_nc_u32 v92, 0, v81 :: v_dual_bitop2_b32 v89, v5, v43 bitop3:0x14
	v_cndmask_b32_e64 v5, v90, v84, s14
	v_cmp_gt_f32_e64 s14, 0x48000000, |v18|
	s_delay_alu instid0(VALU_DEP_2) | instskip(NEXT) | instid1(VALU_DEP_4)
	v_cndmask_b32_e64 v5, v6, v5, s15
	v_clz_i32_u32_e32 v6, v89
	v_cmp_gt_f32_e64 s15, 0x48000000, |v22|
	s_delay_alu instid0(VALU_DEP_3) | instskip(NEXT) | instid1(VALU_DEP_3)
	v_cndmask_b32_e64 v5, v7, v5, s17
	v_min_u32_e32 v6, 32, v6
	s_delay_alu instid0(VALU_DEP_2) | instskip(NEXT) | instid1(VALU_DEP_2)
	v_alignbit_b32 v2, v3, v5, v2
	v_dual_sub_nc_u32 v7, 31, v6 :: v_dual_lshlrev_b32 v90, 23, v6
	s_delay_alu instid0(VALU_DEP_2) | instskip(NEXT) | instid1(VALU_DEP_1)
	v_cndmask_b32_e64 v2, v2, v3, s18
	v_alignbit_b32 v3, v91, v2, 30
	v_alignbit_b32 v2, v2, v5, 30
	s_delay_alu instid0(VALU_DEP_2) | instskip(NEXT) | instid1(VALU_DEP_2)
	v_xor_b32_e32 v3, v3, v43
	v_xor_b32_e32 v2, v2, v43
	s_delay_alu instid0(VALU_DEP_2) | instskip(NEXT) | instid1(VALU_DEP_2)
	v_alignbit_b32 v91, v89, v3, v7
	v_alignbit_b32 v2, v3, v2, v7
	s_delay_alu instid0(VALU_DEP_1) | instskip(NEXT) | instid1(VALU_DEP_1)
	v_alignbit_b32 v3, v91, v2, 9
	v_clz_i32_u32_e32 v5, v3
	s_delay_alu instid0(VALU_DEP_1) | instskip(NEXT) | instid1(VALU_DEP_1)
	v_min_u32_e32 v5, 32, v5
	v_not_b32_e32 v7, v5
	v_add_lshl_u32 v95, v5, v6, 23
	s_delay_alu instid0(VALU_DEP_2) | instskip(SKIP_3) | instid1(VALU_DEP_3)
	v_alignbit_b32 v96, v3, v2, v7
	v_lshlrev_b32_e32 v2, 31, v42
	v_cndmask_b32_e64 v7, v99, v94, s13
	v_cndmask_b32_e64 v42, v88, v86, s16
	v_or_b32_e32 v93, 0x33000000, v2
	s_delay_alu instid0(VALU_DEP_3) | instskip(SKIP_1) | instid1(VALU_DEP_4)
	v_dual_cndmask_b32 v3, v100, v7, s12 :: v_dual_bitop2_b32 v89, 0.5, v2 bitop3:0x54
	v_mul_f32_e64 v2, 0x3f22f983, |v18|
	v_cndmask_b32_e64 v5, v94, v42, s13
	s_delay_alu instid0(VALU_DEP_2) | instskip(NEXT) | instid1(VALU_DEP_4)
	v_rndne_f32_e32 v84, v2
	v_alignbit_b32 v2, v97, v3, v87
	s_delay_alu instid0(VALU_DEP_1) | instskip(NEXT) | instid1(VALU_DEP_4)
	v_cndmask_b32_e64 v6, v2, v97, s11
	v_cndmask_b32_e64 v5, v7, v5, s12
	v_cmp_class_f32_e64 s12, v22, 0x1f8
	s_delay_alu instid0(VALU_DEP_3) | instskip(NEXT) | instid1(VALU_DEP_3)
	v_alignbit_b32 v2, v4, v6, 30
	v_alignbit_b32 v7, v3, v5, v87
	v_lshrrev_b32_e32 v4, 30, v4
	s_delay_alu instid0(VALU_DEP_2) | instskip(SKIP_1) | instid1(VALU_DEP_2)
	v_dual_cndmask_b32 v3, v7, v3, s11 :: v_dual_bitop2_b32 v2, v2, v92 bitop3:0x14
	v_cmp_class_f32_e64 s11, v18, 0x1f8
	v_clz_i32_u32_e32 v7, v2
	s_delay_alu instid0(VALU_DEP_3) | instskip(SKIP_1) | instid1(VALU_DEP_3)
	v_alignbit_b32 v6, v6, v3, 30
	v_alignbit_b32 v3, v3, v5, 30
	v_min_u32_e32 v7, 32, v7
	s_delay_alu instid0(VALU_DEP_3) | instskip(NEXT) | instid1(VALU_DEP_2)
	v_xor_b32_e32 v6, v6, v92
	v_dual_sub_nc_u32 v28, 31, v7 :: v_dual_bitop2_b32 v3, v3, v92 bitop3:0x14
	s_delay_alu instid0(VALU_DEP_1) | instskip(NEXT) | instid1(VALU_DEP_2)
	v_alignbit_b32 v2, v2, v6, v28
	v_alignbit_b32 v3, v6, v3, v28
	s_delay_alu instid0(VALU_DEP_1) | instskip(SKIP_1) | instid1(VALU_DEP_2)
	v_alignbit_b32 v5, v2, v3, 9
	v_lshrrev_b32_e32 v2, 9, v2
	v_clz_i32_u32_e32 v6, v5
	s_delay_alu instid0(VALU_DEP_1) | instskip(NEXT) | instid1(VALU_DEP_1)
	v_min_u32_e32 v6, 32, v6
	v_not_b32_e32 v28, v6
	v_add_lshl_u32 v6, v6, v7, 23
	s_delay_alu instid0(VALU_DEP_2) | instskip(SKIP_1) | instid1(VALU_DEP_2)
	v_alignbit_b32 v3, v5, v3, v28
	v_dual_lshlrev_b32 v28, 31, v85 :: v_dual_lshrrev_b32 v5, 9, v96
	v_lshrrev_b32_e32 v3, 9, v3
	s_delay_alu instid0(VALU_DEP_2) | instskip(NEXT) | instid1(VALU_DEP_1)
	v_or_b32_e32 v42, 0x33000000, v28
	v_dual_sub_nc_u32 v6, v42, v6 :: v_dual_sub_nc_u32 v42, v93, v95
	s_delay_alu instid0(VALU_DEP_1) | instskip(SKIP_1) | instid1(VALU_DEP_3)
	v_or_b32_e32 v87, v6, v3
	v_dual_lshlrev_b32 v6, 23, v7 :: v_dual_bitop2_b32 v3, 0.5, v28 bitop3:0x54
	v_dual_lshrrev_b32 v5, 9, v91 :: v_dual_bitop2_b32 v86, v42, v5 bitop3:0x54
	s_delay_alu instid0(VALU_DEP_2) | instskip(NEXT) | instid1(VALU_DEP_1)
	v_sub_nc_u32_e32 v3, v3, v6
	v_dual_sub_nc_u32 v6, v89, v90 :: v_dual_bitop2_b32 v3, v2, v3 bitop3:0x54
	s_delay_alu instid0(VALU_DEP_1) | instskip(SKIP_1) | instid1(VALU_DEP_2)
	v_dual_lshrrev_b32 v5, 30, v23 :: v_dual_bitop2_b32 v2, v5, v6 bitop3:0x54
	v_cvt_i32_f32_e32 v23, v84
	v_pk_mul_f32 v[6:7], v[2:3], s[44:45] op_sel_hi:[1,0]
	s_delay_alu instid0(VALU_DEP_1) | instskip(NEXT) | instid1(VALU_DEP_1)
	v_pk_fma_f32 v[42:43], v[2:3], s[44:45], v[6:7] op_sel_hi:[1,0,1] neg_lo:[0,0,1] neg_hi:[0,0,1]
	v_pk_fma_f32 v[2:3], v[2:3], s[46:47], v[42:43] op_sel_hi:[1,0,1]
	v_mov_b32_e32 v43, v29
	s_delay_alu instid0(VALU_DEP_2) | instskip(NEXT) | instid1(VALU_DEP_1)
	v_pk_fma_f32 v[2:3], v[86:87], s[44:45], v[2:3] op_sel_hi:[1,0,1]
	v_pk_add_f32 v[2:3], v[6:7], v[2:3]
	v_dual_add_nc_u32 v6, v83, v5 :: v_dual_add_nc_u32 v7, v81, v4
	v_mul_f32_e64 v4, 0x3f22f983, |v22|
	s_delay_alu instid0(VALU_DEP_2) | instskip(NEXT) | instid1(VALU_DEP_2)
	v_cndmask_b32_e64 v23, v6, v23, s14
	v_rndne_f32_e32 v85, v4
	s_delay_alu instid0(VALU_DEP_1) | instskip(SKIP_1) | instid1(VALU_DEP_2)
	v_pk_fma_f32 v[4:5], v[84:85], s[48:49], v[76:77] op_sel_hi:[1,0,1]
	v_cvt_i32_f32_e32 v28, v85
	v_pk_fma_f32 v[4:5], v[84:85], s[50:51], v[4:5] op_sel_hi:[1,0,1]
	s_delay_alu instid0(VALU_DEP_2) | instskip(NEXT) | instid1(VALU_DEP_2)
	v_cndmask_b32_e64 v28, v7, v28, s15
	v_pk_fma_f32 v[4:5], v[84:85], s[52:53], v[4:5] op_sel_hi:[1,0,1]
	s_delay_alu instid0(VALU_DEP_1) | instskip(NEXT) | instid1(VALU_DEP_1)
	v_dual_cndmask_b32 v3, v3, v5, s15 :: v_dual_cndmask_b32 v2, v2, v4, s14
	v_pk_mul_f32 v[4:5], v[2:3], v[2:3]
	s_delay_alu instid0(VALU_DEP_1) | instskip(NEXT) | instid1(VALU_DEP_1)
	v_pk_fma_f32 v[6:7], v[4:5], s[54:55], s[64:65] op_sel_hi:[1,0,0]
	v_pk_fma_f32 v[6:7], v[4:5], v[6:7], s[66:67] op_sel_hi:[1,1,0]
	s_delay_alu instid0(VALU_DEP_1) | instskip(NEXT) | instid1(VALU_DEP_1)
	v_pk_mul_f32 v[6:7], v[4:5], v[6:7]
	v_pk_fma_f32 v[2:3], v[2:3], v[6:7], v[2:3]
	v_pk_fma_f32 v[6:7], v[4:5], s[56:57], s[68:69] op_sel_hi:[1,0,0]
	s_delay_alu instid0(VALU_DEP_1) | instskip(NEXT) | instid1(VALU_DEP_1)
	v_pk_fma_f32 v[6:7], v[4:5], v[6:7], s[28:29] op_sel_hi:[1,1,0]
	v_pk_fma_f32 v[6:7], v[4:5], v[6:7], s[70:71] op_sel_hi:[1,1,0]
	s_delay_alu instid0(VALU_DEP_1) | instskip(SKIP_2) | instid1(VALU_DEP_2)
	v_pk_fma_f32 v[4:5], v[4:5], v[6:7], 1.0 op_sel_hi:[1,1,0]
	v_and_b32_e32 v6, 1, v28
	v_and_b32_e32 v7, 1, v23
	v_cmp_eq_u32_e64 s14, 0, v6
	s_delay_alu instid0(VALU_DEP_2) | instskip(NEXT) | instid1(VALU_DEP_1)
	v_cmp_eq_u32_e64 s13, 0, v7
	v_dual_cndmask_b32 v3, v5, v3, s14 :: v_dual_cndmask_b32 v2, v4, v2, s13
	v_dual_lshlrev_b32 v4, 30, v28 :: v_dual_lshlrev_b32 v5, 30, v23
	s_delay_alu instid0(VALU_DEP_1) | instskip(NEXT) | instid1(VALU_DEP_2)
	v_and_b32_e32 v4, 0x80000000, v4
	v_and_b32_e32 v5, 0x80000000, v5
	s_delay_alu instid0(VALU_DEP_2) | instskip(NEXT) | instid1(VALU_DEP_2)
	v_xor_b32_e32 v4, v4, v22
	v_xor_b32_e32 v5, v5, v18
	v_cndmask_b32_e32 v18, v0, v14, vcc_lo
	v_cndmask_b32_e32 v0, v12, v19, vcc_lo
	s_delay_alu instid0(VALU_DEP_4) | instskip(NEXT) | instid1(VALU_DEP_4)
	v_xor_b32_e32 v3, v4, v3
	v_xor_b32_e32 v2, v5, v2
	s_delay_alu instid0(VALU_DEP_3) | instskip(NEXT) | instid1(VALU_DEP_2)
	v_dual_lshlrev_b32 v0, 30, v0 :: v_dual_bitop2_b32 v22, 1, v0 bitop3:0x40
	v_xor_b32_e32 v2, v2, v76
	s_delay_alu instid0(VALU_DEP_2) | instskip(SKIP_1) | instid1(VALU_DEP_4)
	v_cmp_eq_u32_e32 vcc_lo, 0, v22
	v_xor_b32_e32 v3, v3, v77
	v_and_b32_e32 v23, 0x80000000, v0
	s_delay_alu instid0(VALU_DEP_4) | instskip(NEXT) | instid1(VALU_DEP_3)
	v_cndmask_b32_e64 v2, 0x7fc00000, v2, s11
	v_cndmask_b32_e64 v3, 0x7fc00000, v3, s12
	s_delay_alu instid0(VALU_DEP_1) | instskip(SKIP_1) | instid1(VALU_DEP_1)
	v_pk_fma_f32 v[76:77], v[30:31], v[2:3], v[38:39]
	v_mul_f32_e32 v2, v18, v18
	v_fmaak_f32 v3, s54, v2, 0x3c0881c4
	s_delay_alu instid0(VALU_DEP_1) | instskip(NEXT) | instid1(VALU_DEP_1)
	v_fmaak_f32 v3, v2, v3, 0xbe2aaa9d
	v_mul_f32_e32 v3, v2, v3
	s_delay_alu instid0(VALU_DEP_1) | instskip(NEXT) | instid1(VALU_DEP_1)
	v_dual_fmac_f32 v18, v18, v3 :: v_dual_fmaak_f32 v3, s56, v2, 0xbab64f3b
	v_fmaak_f32 v3, v2, v3, 0x3d2aabf7
	s_delay_alu instid0(VALU_DEP_1) | instskip(NEXT) | instid1(VALU_DEP_1)
	v_fmaak_f32 v3, v2, v3, 0xbf000004
	v_fma_f32 v19, v2, v3, 1.0
	v_mul_f32_e32 v3, v106, v106
	s_delay_alu instid0(VALU_DEP_2) | instskip(NEXT) | instid1(VALU_DEP_2)
	v_cndmask_b32_e64 v2, -v18, v19, vcc_lo
	v_fmaak_f32 v4, s54, v3, 0x3c0881c4
	s_delay_alu instid0(VALU_DEP_2) | instskip(NEXT) | instid1(VALU_DEP_2)
	v_bitop3_b32 v0, v0, v2, 0x80000000 bitop3:0x6c
	v_fmaak_f32 v4, v3, v4, 0xbe2aaa9d
	v_cndmask_b32_e64 v2, v33, v35, s10
	s_delay_alu instid0(VALU_DEP_3) | instskip(NEXT) | instid1(VALU_DEP_2)
	v_cndmask_b32_e64 v0, 0x7fc00000, v0, s4
	v_dual_mul_f32 v4, v3, v4 :: v_dual_bitop2_b32 v35, 1, v2 bitop3:0x40
	s_delay_alu instid0(VALU_DEP_1) | instskip(SKIP_1) | instid1(VALU_DEP_3)
	v_dual_lshlrev_b32 v2, 30, v2 :: v_dual_fmac_f32 v106, v106, v4
	v_fmaak_f32 v4, s56, v3, 0xbab64f3b
	v_cmp_eq_u32_e32 vcc_lo, 0, v35
	s_delay_alu instid0(VALU_DEP_3) | instskip(NEXT) | instid1(VALU_DEP_3)
	v_and_b32_e32 v32, 0x80000000, v2
	v_fmaak_f32 v4, v3, v4, 0x3d2aabf7
	s_delay_alu instid0(VALU_DEP_1) | instskip(NEXT) | instid1(VALU_DEP_1)
	v_fmaak_f32 v4, v3, v4, 0xbf000004
	v_fma_f32 v34, v3, v4, 1.0
	s_delay_alu instid0(VALU_DEP_1) | instskip(NEXT) | instid1(VALU_DEP_1)
	v_cndmask_b32_e64 v3, -v106, v34, vcc_lo
	v_bitop3_b32 v2, v2, v3, 0x80000000 bitop3:0x6c
	s_delay_alu instid0(VALU_DEP_1) | instskip(SKIP_1) | instid1(VALU_DEP_1)
	v_cndmask_b32_e64 v12, 0x7fc00000, v2, s5
	v_div_scale_f32 v2, null, v36, v36, v39
	v_rcp_f32_e32 v3, v2
	v_nop
	s_delay_alu instid0(TRANS32_DEP_1) | instskip(NEXT) | instid1(VALU_DEP_1)
	v_fma_f32 v4, -v2, v3, 1.0
	v_fmac_f32_e32 v3, v4, v3
	v_div_scale_f32 v4, vcc_lo, v39, v36, v39
	s_delay_alu instid0(VALU_DEP_1) | instskip(NEXT) | instid1(VALU_DEP_1)
	v_mul_f32_e32 v5, v4, v3
	v_fma_f32 v6, -v2, v5, v4
	s_delay_alu instid0(VALU_DEP_1) | instskip(NEXT) | instid1(VALU_DEP_1)
	v_fmac_f32_e32 v5, v6, v3
	v_fma_f32 v2, -v2, v5, v4
	s_delay_alu instid0(VALU_DEP_1) | instskip(NEXT) | instid1(VALU_DEP_1)
	v_div_fmas_f32 v2, v2, v3, v5
	v_div_fixup_f32 v14, v2, v36, v39
	v_div_scale_f32 v2, null, v37, v37, v38
	s_delay_alu instid0(VALU_DEP_2) | instskip(NEXT) | instid1(VALU_DEP_2)
	v_and_b32_e32 v84, 0x7fffffff, v14
	v_rcp_f32_e32 v3, v2
	s_delay_alu instid0(VALU_DEP_1) | instskip(NEXT) | instid1(TRANS32_DEP_1)
	v_and_or_b32 v28, v84, s49, 0x800000
	v_fma_f32 v4, -v2, v3, 1.0
	s_delay_alu instid0(VALU_DEP_2) | instskip(NEXT) | instid1(VALU_DEP_2)
	v_mul_u64_e32 v[86:87], s[34:35], v[28:29]
	v_fmac_f32_e32 v3, v4, v3
	v_div_scale_f32 v4, vcc_lo, v38, v37, v38
	s_delay_alu instid0(VALU_DEP_1) | instskip(NEXT) | instid1(VALU_DEP_1)
	v_mul_f32_e32 v5, v4, v3
	v_fma_f32 v6, -v2, v5, v4
	s_delay_alu instid0(VALU_DEP_1) | instskip(NEXT) | instid1(VALU_DEP_1)
	v_fmac_f32_e32 v5, v6, v3
	v_fma_f32 v2, -v2, v5, v4
	s_delay_alu instid0(VALU_DEP_1) | instskip(NEXT) | instid1(VALU_DEP_1)
	v_div_fmas_f32 v2, v2, v3, v5
	v_div_fixup_f32 v33, v2, v37, v38
	v_lshrrev_b32_e32 v2, 23, v84
	s_delay_alu instid0(VALU_DEP_2) | instskip(NEXT) | instid1(VALU_DEP_2)
	v_and_b32_e32 v85, 0x7fffffff, v33
	v_add_nc_u32_e32 v2, 0xffffff88, v2
	s_delay_alu instid0(VALU_DEP_1) | instskip(NEXT) | instid1(VALU_DEP_1)
	v_cmp_lt_u32_e64 s12, 63, v2
	v_cndmask_b32_e64 v3, 0, 0xffffffc0, s12
	s_delay_alu instid0(VALU_DEP_1) | instskip(NEXT) | instid1(VALU_DEP_1)
	v_add_nc_u32_e32 v2, v3, v2
	v_cmp_lt_u32_e64 s13, 31, v2
	s_delay_alu instid0(VALU_DEP_1) | instskip(NEXT) | instid1(VALU_DEP_1)
	v_cndmask_b32_e64 v3, 0, 0xffffffe0, s13
	v_add_nc_u32_e32 v2, v3, v2
	s_delay_alu instid0(VALU_DEP_1) | instskip(NEXT) | instid1(VALU_DEP_1)
	v_cmp_lt_u32_e64 s15, 31, v2
	v_cndmask_b32_e64 v3, 0, 0xffffffe0, s15
	s_delay_alu instid0(VALU_DEP_1) | instskip(SKIP_1) | instid1(VALU_DEP_2)
	v_add_nc_u32_e32 v81, v3, v2
	v_dual_mov_b32 v2, v87 :: v_dual_mov_b32 v3, v29
	v_cmp_eq_u32_e64 s16, 0, v81
	s_delay_alu instid0(VALU_DEP_2) | instskip(NEXT) | instid1(VALU_DEP_1)
	v_mad_nc_u64_u32 v[4:5], 0x3c439041, v28, v[2:3]
	v_mov_b32_e32 v2, v5
	s_delay_alu instid0(VALU_DEP_1) | instskip(NEXT) | instid1(VALU_DEP_1)
	v_mad_nc_u64_u32 v[92:93], 0xdb629599, v28, v[2:3]
	v_mov_b32_e32 v2, v93
	s_delay_alu instid0(VALU_DEP_1) | instskip(NEXT) | instid1(VALU_DEP_1)
	;; [unrolled: 3-line block ×4, first 2 shown]
	v_mad_nc_u64_u32 v[42:43], 0x4e441529, v28, v[42:43]
	v_dual_mov_b32 v48, v43 :: v_dual_cndmask_b32 v3, v42, v6, s12
	v_cndmask_b32_e64 v6, v6, v4, s12
	s_delay_alu instid0(VALU_DEP_2) | instskip(NEXT) | instid1(VALU_DEP_1)
	v_mad_nc_u64_u32 v[48:49], 0xa2f9836e, v28, v[48:49]
	v_cndmask_b32_e64 v5, v48, v2, s12
	s_delay_alu instid0(VALU_DEP_2) | instskip(SKIP_1) | instid1(VALU_DEP_2)
	v_cndmask_b32_e64 v7, v49, v42, s12
	v_mov_b32_e32 v49, v29
	v_dual_cndmask_b32 v83, v5, v3, s13 :: v_dual_cndmask_b32 v87, v7, v5, s13
	v_cndmask_b32_e64 v5, v2, v92, s12
	s_delay_alu instid0(VALU_DEP_1) | instskip(NEXT) | instid1(VALU_DEP_1)
	v_dual_cndmask_b32 v3, v3, v5, s13 :: v_dual_cndmask_b32 v7, v5, v6, s13
	v_dual_sub_nc_u32 v2, 32, v81 :: v_dual_cndmask_b32 v99, v83, v3, s15
	s_delay_alu instid0(VALU_DEP_2) | instskip(NEXT) | instid1(VALU_DEP_1)
	v_cndmask_b32_e64 v3, v3, v7, s15
	v_alignbit_b32 v4, v99, v3, v2
	s_delay_alu instid0(VALU_DEP_1) | instskip(NEXT) | instid1(VALU_DEP_1)
	v_dual_lshrrev_b32 v5, 23, v85 :: v_dual_cndmask_b32 v93, v4, v99, s16
	v_add_nc_u32_e32 v5, 0xffffff88, v5
	s_delay_alu instid0(VALU_DEP_1) | instskip(NEXT) | instid1(VALU_DEP_1)
	v_cmp_lt_u32_e64 s14, 63, v5
	v_cndmask_b32_e64 v28, 0, 0xffffffc0, s14
	s_delay_alu instid0(VALU_DEP_1) | instskip(NEXT) | instid1(VALU_DEP_1)
	v_add_nc_u32_e32 v5, v28, v5
	v_cmp_lt_u32_e64 s11, 31, v5
	s_delay_alu instid0(VALU_DEP_1) | instskip(NEXT) | instid1(VALU_DEP_1)
	v_cndmask_b32_e64 v28, 0, 0xffffffe0, s11
	v_add_nc_u32_e32 v5, v28, v5
	s_delay_alu instid0(VALU_DEP_1) | instskip(NEXT) | instid1(VALU_DEP_1)
	v_cmp_lt_u32_e64 s10, 31, v5
	v_cndmask_b32_e64 v28, 0, 0xffffffe0, s10
	s_delay_alu instid0(VALU_DEP_1) | instskip(SKIP_1) | instid1(VALU_DEP_2)
	v_dual_add_nc_u32 v105, v28, v5 :: v_dual_mov_b32 v5, v29
	v_and_or_b32 v28, v85, s49, 0x800000
	v_cmp_eq_u32_e32 vcc_lo, 0, v105
	s_delay_alu instid0(VALU_DEP_2) | instskip(NEXT) | instid1(VALU_DEP_1)
	v_mul_u64_e32 v[88:89], s[34:35], v[28:29]
	v_mov_b32_e32 v4, v89
	s_delay_alu instid0(VALU_DEP_1) | instskip(NEXT) | instid1(VALU_DEP_1)
	v_mad_nc_u64_u32 v[94:95], 0x3c439041, v28, v[4:5]
	v_mov_b32_e32 v4, v95
	s_delay_alu instid0(VALU_DEP_1) | instskip(NEXT) | instid1(VALU_DEP_1)
	v_mad_nc_u64_u32 v[90:91], 0xdb629599, v28, v[4:5]
	v_dual_mov_b32 v4, v91 :: v_dual_sub_nc_u32 v91, 32, v105
	s_delay_alu instid0(VALU_DEP_1) | instskip(NEXT) | instid1(VALU_DEP_1)
	v_mad_nc_u64_u32 v[96:97], 0xf534ddc0, v28, v[4:5]
	v_dual_mov_b32 v43, v29 :: v_dual_mov_b32 v4, v97
	s_delay_alu instid0(VALU_DEP_1) | instskip(NEXT) | instid1(VALU_DEP_1)
	v_mad_nc_u64_u32 v[4:5], 0xfc2757d1, v28, v[4:5]
	v_mov_b32_e32 v42, v5
	s_delay_alu instid0(VALU_DEP_1) | instskip(NEXT) | instid1(VALU_DEP_1)
	v_mad_nc_u64_u32 v[42:43], 0x4e441529, v28, v[42:43]
	v_dual_mov_b32 v48, v43 :: v_dual_cndmask_b32 v5, v42, v96, s14
	s_delay_alu instid0(VALU_DEP_1) | instskip(NEXT) | instid1(VALU_DEP_1)
	v_mad_nc_u64_u32 v[48:49], 0xa2f9836e, v28, v[48:49]
	v_dual_cndmask_b32 v28, v48, v4, s14 :: v_dual_cndmask_b32 v42, v49, v42, s14
	s_delay_alu instid0(VALU_DEP_1) | instskip(NEXT) | instid1(VALU_DEP_2)
	v_dual_cndmask_b32 v49, v87, v83, s15 :: v_dual_cndmask_b32 v48, v28, v5, s11
	v_dual_cndmask_b32 v28, v42, v28, s11 :: v_dual_cndmask_b32 v42, v4, v90, s14
	s_delay_alu instid0(VALU_DEP_1) | instskip(NEXT) | instid1(VALU_DEP_3)
	v_dual_cndmask_b32 v28, v28, v48, s10 :: v_dual_cndmask_b32 v43, v5, v42, s11
	v_alignbit_b32 v5, v49, v99, v2
	s_delay_alu instid0(VALU_DEP_1) | instskip(NEXT) | instid1(VALU_DEP_1)
	v_dual_cndmask_b32 v100, v48, v43, s10 :: v_dual_cndmask_b32 v81, v5, v49, s16
	v_alignbit_b32 v4, v28, v100, v91
	s_delay_alu instid0(VALU_DEP_2) | instskip(SKIP_1) | instid1(VALU_DEP_2)
	v_lshrrev_b32_e32 v97, 29, v81
	v_alignbit_b32 v5, v81, v93, 30
	v_dual_cndmask_b32 v4, v4, v28, vcc_lo :: v_dual_bitop2_b32 v87, 1, v97 bitop3:0x40
	s_delay_alu instid0(VALU_DEP_1) | instskip(NEXT) | instid1(VALU_DEP_1)
	v_dual_lshrrev_b32 v89, 29, v4 :: v_dual_sub_nc_u32 v99, 0, v87
	v_and_b32_e32 v83, 1, v89
	s_delay_alu instid0(VALU_DEP_2) | instskip(SKIP_1) | instid1(VALU_DEP_2)
	v_dual_cndmask_b32 v5, v92, v86, s12 :: v_dual_bitop2_b32 v95, v5, v99 bitop3:0x14
	v_cmp_gt_f32_e64 s12, 0x48000000, |v14|
	v_cndmask_b32_e64 v5, v6, v5, s13
	s_delay_alu instid0(VALU_DEP_3) | instskip(SKIP_1) | instid1(VALU_DEP_3)
	v_clz_i32_u32_e32 v6, v95
	v_cmp_gt_f32_e64 s13, 0x48000000, |v33|
	v_cndmask_b32_e64 v5, v7, v5, s15
	s_delay_alu instid0(VALU_DEP_3) | instskip(NEXT) | instid1(VALU_DEP_2)
	v_min_u32_e32 v6, 32, v6
	v_alignbit_b32 v2, v3, v5, v2
	s_delay_alu instid0(VALU_DEP_1) | instskip(NEXT) | instid1(VALU_DEP_1)
	v_dual_sub_nc_u32 v7, 31, v6 :: v_dual_cndmask_b32 v2, v2, v3, s16
	v_alignbit_b32 v3, v93, v2, 30
	v_alignbit_b32 v2, v2, v5, 30
	s_delay_alu instid0(VALU_DEP_2) | instskip(NEXT) | instid1(VALU_DEP_2)
	v_dual_lshlrev_b32 v93, 23, v6 :: v_dual_bitop2_b32 v3, v3, v99 bitop3:0x14
	v_xor_b32_e32 v2, v2, v99
	s_delay_alu instid0(VALU_DEP_2) | instskip(NEXT) | instid1(VALU_DEP_2)
	v_alignbit_b32 v95, v95, v3, v7
	v_alignbit_b32 v2, v3, v2, v7
	s_delay_alu instid0(VALU_DEP_1) | instskip(NEXT) | instid1(VALU_DEP_1)
	v_alignbit_b32 v3, v95, v2, 9
	v_clz_i32_u32_e32 v5, v3
	s_delay_alu instid0(VALU_DEP_1) | instskip(NEXT) | instid1(VALU_DEP_1)
	v_min_u32_e32 v5, 32, v5
	v_not_b32_e32 v7, v5
	v_add_lshl_u32 v105, v5, v6, 23
	s_delay_alu instid0(VALU_DEP_2) | instskip(SKIP_2) | instid1(VALU_DEP_2)
	v_alignbit_b32 v99, v3, v2, v7
	v_dual_lshlrev_b32 v2, 31, v97 :: v_dual_cndmask_b32 v3, v96, v94, s14
	v_sub_nc_u32_e32 v94, 0, v83
	v_or_b32_e32 v97, 0x33000000, v2
	v_or_b32_e32 v92, 0.5, v2
	v_mul_f32_e64 v2, 0x3f22f983, |v14|
	s_delay_alu instid0(VALU_DEP_1) | instskip(SKIP_1) | instid1(VALU_DEP_1)
	v_rndne_f32_e32 v86, v2
	v_cndmask_b32_e64 v2, v42, v3, s11
	v_dual_cndmask_b32 v42, v90, v88, s14 :: v_dual_cndmask_b32 v6, v43, v2, s10
	s_delay_alu instid0(VALU_DEP_1) | instskip(NEXT) | instid1(VALU_DEP_2)
	v_cndmask_b32_e64 v3, v3, v42, s11
	v_alignbit_b32 v5, v100, v6, v91
	s_delay_alu instid0(VALU_DEP_2) | instskip(SKIP_1) | instid1(VALU_DEP_3)
	v_cndmask_b32_e64 v2, v2, v3, s10
	v_cmp_class_f32_e64 s10, v33, 0x1f8
	v_cndmask_b32_e32 v7, v5, v100, vcc_lo
	s_delay_alu instid0(VALU_DEP_3) | instskip(NEXT) | instid1(VALU_DEP_2)
	v_alignbit_b32 v3, v6, v2, v91
	v_alignbit_b32 v5, v4, v7, 30
	s_delay_alu instid0(VALU_DEP_2) | instskip(SKIP_1) | instid1(VALU_DEP_3)
	v_cndmask_b32_e32 v3, v3, v6, vcc_lo
	v_cmp_class_f32_e64 vcc_lo, v14, 0x1f8
	v_dual_lshrrev_b32 v4, 30, v4 :: v_dual_bitop2_b32 v96, v5, v94 bitop3:0x14
	s_delay_alu instid0(VALU_DEP_3) | instskip(NEXT) | instid1(VALU_DEP_2)
	v_alignbit_b32 v5, v7, v3, 30
	v_clz_i32_u32_e32 v6, v96
	s_delay_alu instid0(VALU_DEP_2) | instskip(NEXT) | instid1(VALU_DEP_2)
	v_xor_b32_e32 v5, v5, v94
	v_min_u32_e32 v6, 32, v6
	s_delay_alu instid0(VALU_DEP_1) | instskip(SKIP_1) | instid1(VALU_DEP_2)
	v_sub_nc_u32_e32 v7, 31, v6
	v_alignbit_b32 v2, v3, v2, 30
	v_alignbit_b32 v28, v96, v5, v7
	s_delay_alu instid0(VALU_DEP_2) | instskip(NEXT) | instid1(VALU_DEP_1)
	v_xor_b32_e32 v2, v2, v94
	v_alignbit_b32 v2, v5, v2, v7
	s_delay_alu instid0(VALU_DEP_1) | instskip(NEXT) | instid1(VALU_DEP_1)
	v_alignbit_b32 v3, v28, v2, 9
	v_clz_i32_u32_e32 v5, v3
	s_delay_alu instid0(VALU_DEP_1) | instskip(NEXT) | instid1(VALU_DEP_1)
	v_min_u32_e32 v5, 32, v5
	v_not_b32_e32 v7, v5
	v_add_lshl_u32 v5, v5, v6, 23
	v_lshlrev_b32_e32 v6, 23, v6
	s_delay_alu instid0(VALU_DEP_3) | instskip(SKIP_1) | instid1(VALU_DEP_1)
	v_alignbit_b32 v2, v3, v2, v7
	v_dual_lshlrev_b32 v7, 31, v89 :: v_dual_lshrrev_b32 v3, 9, v99
	v_or_b32_e32 v42, 0x33000000, v7
	s_delay_alu instid0(VALU_DEP_1) | instskip(SKIP_1) | instid1(VALU_DEP_2)
	v_dual_lshrrev_b32 v2, 9, v2 :: v_dual_sub_nc_u32 v5, v42, v5
	v_sub_nc_u32_e32 v42, v97, v105
	v_dual_lshrrev_b32 v2, 9, v28 :: v_dual_bitop2_b32 v89, v5, v2 bitop3:0x54
	s_delay_alu instid0(VALU_DEP_2) | instskip(SKIP_3) | instid1(VALU_DEP_3)
	v_or_b32_e32 v88, v42, v3
	v_or_b32_e32 v3, 0.5, v7
	v_lshrrev_b32_e32 v5, 9, v95
	v_cvt_i32_f32_e32 v28, v86
	v_dual_sub_nc_u32 v3, v3, v6 :: v_dual_sub_nc_u32 v6, v92, v93
	s_delay_alu instid0(VALU_DEP_1) | instskip(NEXT) | instid1(VALU_DEP_2)
	v_or_b32_e32 v3, v2, v3
	v_dual_lshrrev_b32 v5, 30, v81 :: v_dual_bitop2_b32 v2, v5, v6 bitop3:0x54
	s_delay_alu instid0(VALU_DEP_1) | instskip(NEXT) | instid1(VALU_DEP_1)
	v_pk_mul_f32 v[6:7], v[2:3], s[44:45] op_sel_hi:[1,0]
	v_pk_fma_f32 v[42:43], v[2:3], s[44:45], v[6:7] op_sel_hi:[1,0,1] neg_lo:[0,0,1] neg_hi:[0,0,1]
	s_delay_alu instid0(VALU_DEP_1) | instskip(NEXT) | instid1(VALU_DEP_1)
	v_pk_fma_f32 v[2:3], v[2:3], s[46:47], v[42:43] op_sel_hi:[1,0,1]
	v_pk_fma_f32 v[2:3], v[88:89], s[44:45], v[2:3] op_sel_hi:[1,0,1]
	s_delay_alu instid0(VALU_DEP_1) | instskip(SKIP_3) | instid1(VALU_DEP_2)
	v_pk_add_f32 v[2:3], v[6:7], v[2:3]
	v_add_nc_u32_e32 v7, v83, v4
	v_mul_f32_e64 v4, 0x3f22f983, |v33|
	v_add_nc_u32_e32 v6, v87, v5
	v_rndne_f32_e32 v87, v4
	s_delay_alu instid0(VALU_DEP_1) | instskip(SKIP_1) | instid1(VALU_DEP_2)
	v_pk_fma_f32 v[4:5], v[86:87], s[48:49], v[84:85] op_sel_hi:[1,0,1]
	v_cvt_i32_f32_e32 v42, v87
	v_pk_fma_f32 v[4:5], v[86:87], s[50:51], v[4:5] op_sel_hi:[1,0,1]
	s_delay_alu instid0(VALU_DEP_1) | instskip(NEXT) | instid1(VALU_DEP_1)
	v_pk_fma_f32 v[4:5], v[86:87], s[52:53], v[4:5] op_sel_hi:[1,0,1]
	v_dual_cndmask_b32 v87, v3, v5, s13 :: v_dual_cndmask_b32 v86, v2, v4, s12
	s_delay_alu instid0(VALU_DEP_4) | instskip(NEXT) | instid1(VALU_DEP_2)
	v_dual_cndmask_b32 v4, v6, v28, s12 :: v_dual_cndmask_b32 v81, v7, v42, s13
	v_pk_mul_f32 v[2:3], v[86:87], v[86:87]
	s_delay_alu instid0(VALU_DEP_1) | instskip(NEXT) | instid1(VALU_DEP_1)
	v_pk_fma_f32 v[6:7], v[2:3], s[54:55], s[64:65] op_sel_hi:[1,0,0]
	v_pk_fma_f32 v[6:7], v[2:3], v[6:7], s[66:67] op_sel_hi:[1,1,0]
	s_delay_alu instid0(VALU_DEP_1) | instskip(NEXT) | instid1(VALU_DEP_1)
	v_pk_mul_f32 v[6:7], v[2:3], v[6:7]
	v_pk_fma_f32 v[86:87], v[86:87], v[6:7], v[86:87]
	v_pk_fma_f32 v[6:7], v[2:3], s[56:57], s[68:69] op_sel_hi:[1,0,0]
	s_delay_alu instid0(VALU_DEP_1) | instskip(NEXT) | instid1(VALU_DEP_1)
	v_pk_fma_f32 v[6:7], v[2:3], v[6:7], s[28:29] op_sel_hi:[1,1,0]
	v_pk_fma_f32 v[6:7], v[2:3], v[6:7], s[70:71] op_sel_hi:[1,1,0]
	s_delay_alu instid0(VALU_DEP_1) | instskip(SKIP_3) | instid1(VALU_DEP_3)
	v_pk_fma_f32 v[88:89], v[2:3], v[6:7], 1.0 op_sel_hi:[1,1,0]
	v_and_b32_e32 v3, 1, v4
	v_dual_lshlrev_b32 v5, 30, v81 :: v_dual_bitop2_b32 v2, 1, v81 bitop3:0x40
	v_lshlrev_b32_e32 v4, 30, v4
	v_cmp_eq_u32_e64 s11, 0, v3
	s_delay_alu instid0(VALU_DEP_3) | instskip(NEXT) | instid1(VALU_DEP_4)
	v_cmp_eq_u32_e64 s12, 0, v2
	v_and_b32_e32 v5, 0x80000000, v5
	s_delay_alu instid0(VALU_DEP_4) | instskip(NEXT) | instid1(VALU_DEP_3)
	v_and_b32_e32 v4, 0x80000000, v4
	v_dual_cndmask_b32 v2, v88, v86, s11 :: v_dual_cndmask_b32 v3, v89, v87, s12
	s_delay_alu instid0(VALU_DEP_3) | instskip(NEXT) | instid1(VALU_DEP_3)
	v_dual_mov_b32 v86, v79 :: v_dual_bitop2_b32 v5, v5, v33 bitop3:0x14
	v_dual_mov_b32 v87, v78 :: v_dual_bitop2_b32 v4, v4, v14 bitop3:0x14
	s_delay_alu instid0(VALU_DEP_2) | instskip(SKIP_1) | instid1(VALU_DEP_3)
	v_dual_sub_f32 v33, v80, v82 :: v_dual_bitop2_b32 v3, v5, v3 bitop3:0x14
	v_mov_b64_e32 v[78:79], 0
	v_xor_b32_e32 v2, v4, v2
	scratch_load_b64 v[4:5], off, off offset:76 ; 8-byte Folded Reload
                                        ; implicit-def: $vgpr80
	v_xor_b32_e32 v3, v3, v85
	v_xor_b32_e32 v2, v2, v84
	s_delay_alu instid0(VALU_DEP_2) | instskip(NEXT) | instid1(VALU_DEP_2)
	v_cndmask_b32_e64 v3, 0x7fc00000, v3, s10
	v_cndmask_b32_e32 v2, 0x7fc00000, v2, vcc_lo
	s_wait_loadcnt 0x0
	s_delay_alu instid0(VALU_DEP_1)
	v_pk_fma_f32 v[84:85], v[4:5], v[2:3], v[38:39]
	s_branch .LBB2_34
.LBB2_27:                               ;   in Loop: Header=BB2_34 Depth=2
	s_or_b32 exec_lo, exec_lo, s16
	s_delay_alu instid0(VALU_DEP_1)
	v_dual_mov_b32 v3, v81 :: v_dual_mov_b32 v4, v80
.LBB2_28:                               ;   in Loop: Header=BB2_34 Depth=2
	s_or_b32 exec_lo, exec_lo, s15
.LBB2_29:                               ;   in Loop: Header=BB2_34 Depth=2
	s_delay_alu instid0(SALU_CYCLE_1)
	s_or_b32 exec_lo, exec_lo, s12
.LBB2_30:                               ;   in Loop: Header=BB2_34 Depth=2
	s_delay_alu instid0(SALU_CYCLE_1)
	s_or_b32 exec_lo, exec_lo, s11
.LBB2_31:                               ;   in Loop: Header=BB2_34 Depth=2
	s_delay_alu instid0(SALU_CYCLE_1)
	s_or_b32 exec_lo, exec_lo, s10
	s_wait_loadcnt 0x0
	v_dual_mov_b32 v80, v4 :: v_dual_mov_b32 v81, v3
.LBB2_32:                               ;   in Loop: Header=BB2_34 Depth=2
	s_or_b32 exec_lo, exec_lo, s14
	s_wait_loadcnt 0x0
	s_delay_alu instid0(VALU_DEP_1)
	v_pk_fma_f32 v[78:79], v[14:15], v[80:81], v[78:79] op_sel_hi:[0,1,1]
.LBB2_33:                               ;   in Loop: Header=BB2_34 Depth=2
	s_or_b32 exec_lo, exec_lo, s13
	s_add_co_i32 s30, s30, 1
	s_delay_alu instid0(SALU_CYCLE_1)
	s_cmp_lg_u32 s30, 5
	s_cbranch_scc0 .LBB2_1
.LBB2_34:                               ;   Parent Loop BB2_2 Depth=1
                                        ; =>  This Loop Header: Depth=2
                                        ;       Child Loop BB2_154 Depth 3
                                        ;       Child Loop BB2_167 Depth 3
	v_lshl_add_u64 v[82:83], s[30:31], 3, v[20:21]
	s_mov_b32 s13, exec_lo
	global_load_b32 v14, v[82:83], off offset:4
	s_wait_loadcnt 0x0
	s_wait_xcnt 0x0
	v_cmpx_ngt_f32_e64 0x3c23d70a, |v14|
	s_cbranch_execz .LBB2_33
; %bb.35:                               ;   in Loop: Header=BB2_34 Depth=2
	global_load_b32 v2, v[82:83], off
	s_mov_b32 s10, exec_lo
	s_wait_loadcnt 0x0
	s_wait_xcnt 0x0
	v_cmpx_lt_i32_e32 17, v2
	s_xor_b32 s14, exec_lo, s10
	s_cbranch_execz .LBB2_181
; %bb.36:                               ;   in Loop: Header=BB2_34 Depth=2
	s_mov_b32 s10, exec_lo
	v_cmpx_lt_i32_e32 33, v2
	s_xor_b32 s15, exec_lo, s10
	s_cbranch_execz .LBB2_122
; %bb.37:                               ;   in Loop: Header=BB2_34 Depth=2
	s_mov_b32 s10, exec_lo
	;; [unrolled: 5-line block ×6, first 2 shown]
	v_cmpx_eq_u32_e32 48, v2
	s_cbranch_execz .LBB2_43
; %bb.42:                               ;   in Loop: Header=BB2_34 Depth=2
	scratch_load_b64 v[80:81], off, off offset:20 ; 8-byte Folded Reload
.LBB2_43:                               ;   in Loop: Header=BB2_34 Depth=2
	s_wait_xcnt 0x0
	s_or_b32 exec_lo, exec_lo, s11
.LBB2_44:                               ;   in Loop: Header=BB2_34 Depth=2
	s_and_not1_saveexec_b32 s21, s10
	s_cbranch_execz .LBB2_54
; %bb.45:                               ;   in Loop: Header=BB2_34 Depth=2
	global_load_b32 v2, v[24:25], off
                                        ; implicit-def: $vgpr3
	s_wait_loadcnt 0x0
	v_mul_f32_e32 v2, v40, v2
	s_delay_alu instid0(VALU_DEP_1) | instskip(NEXT) | instid1(VALU_DEP_1)
	v_mul_f32_e32 v82, v14, v2
	v_and_b32_e32 v83, 0x7fffffff, v82
	s_delay_alu instid0(VALU_DEP_1) | instskip(SKIP_2) | instid1(VALU_DEP_3)
	v_lshrrev_b32_e32 v2, 23, v83
	v_cmp_ngt_f32_e64 s12, 0x48000000, |v82|
	v_and_or_b32 v28, v83, s49, 0x800000
	v_add_nc_u32_e32 v6, 0xffffff88, v2
                                        ; implicit-def: $vgpr2
	s_wait_xcnt 0x0
	s_and_saveexec_b32 s10, s12
	s_delay_alu instid0(SALU_CYCLE_1)
	s_xor_b32 s22, exec_lo, s10
	s_cbranch_execz .LBB2_47
; %bb.46:                               ;   in Loop: Header=BB2_34 Depth=2
	v_mul_u64_e32 v[2:3], s[34:35], v[28:29]
	v_mov_b32_e32 v5, v29
	v_cmp_lt_u32_e32 vcc_lo, 63, v6
	s_delay_alu instid0(VALU_DEP_3) | instskip(SKIP_1) | instid1(VALU_DEP_2)
	v_dual_mov_b32 v91, v29 :: v_dual_mov_b32 v4, v3
	v_cndmask_b32_e64 v3, 0, 0xffffffc0, vcc_lo
	v_mad_nc_u64_u32 v[4:5], 0x3c439041, v28, v[4:5]
	s_delay_alu instid0(VALU_DEP_2) | instskip(NEXT) | instid1(VALU_DEP_1)
	v_dual_mov_b32 v43, v29 :: v_dual_add_nc_u32 v3, v3, v6
	v_cmp_lt_u32_e64 s10, 31, v3
	s_delay_alu instid0(VALU_DEP_3) | instskip(NEXT) | instid1(VALU_DEP_2)
	v_mov_b32_e32 v42, v5
	v_cndmask_b32_e64 v5, 0, 0xffffffe0, s10
	s_delay_alu instid0(VALU_DEP_2) | instskip(NEXT) | instid1(VALU_DEP_1)
	v_mad_nc_u64_u32 v[42:43], 0xdb629599, v28, v[42:43]
	v_dual_mov_b32 v49, v29 :: v_dual_mov_b32 v48, v43
	s_delay_alu instid0(VALU_DEP_1) | instskip(NEXT) | instid1(VALU_DEP_1)
	v_mad_nc_u64_u32 v[48:49], 0xf534ddc0, v28, v[48:49]
	v_dual_mov_b32 v81, v29 :: v_dual_mov_b32 v80, v49
	s_delay_alu instid0(VALU_DEP_2) | instskip(NEXT) | instid1(VALU_DEP_2)
	v_cndmask_b32_e32 v4, v48, v4, vcc_lo
	v_mad_nc_u64_u32 v[80:81], 0xfc2757d1, v28, v[80:81]
	s_delay_alu instid0(VALU_DEP_1) | instskip(NEXT) | instid1(VALU_DEP_1)
	v_dual_mov_b32 v89, v29 :: v_dual_mov_b32 v88, v81
	v_mad_nc_u64_u32 v[88:89], 0x4e441529, v28, v[88:89]
	s_delay_alu instid0(VALU_DEP_1) | instskip(NEXT) | instid1(VALU_DEP_1)
	v_dual_mov_b32 v90, v89 :: v_dual_cndmask_b32 v7, v88, v48
	v_mad_nc_u64_u32 v[90:91], 0xa2f9836e, v28, v[90:91]
	s_delay_alu instid0(VALU_DEP_1) | instskip(NEXT) | instid1(VALU_DEP_1)
	v_dual_add_nc_u32 v3, v5, v3 :: v_dual_cndmask_b32 v43, v90, v80, vcc_lo
	v_cmp_lt_u32_e64 s11, 31, v3
	s_delay_alu instid0(VALU_DEP_3) | instskip(NEXT) | instid1(VALU_DEP_2)
	v_dual_cndmask_b32 v49, v91, v88 :: v_dual_cndmask_b32 v80, v80, v42
	v_cndmask_b32_e64 v5, 0, 0xffffffe0, s11
	s_delay_alu instid0(VALU_DEP_1) | instskip(SKIP_1) | instid1(VALU_DEP_4)
	v_add_nc_u32_e32 v3, v5, v3
	v_cndmask_b32_e64 v5, v43, v7, s10
	v_dual_cndmask_b32 v43, v49, v43, s10 :: v_dual_cndmask_b32 v7, v7, v80, s10
	s_delay_alu instid0(VALU_DEP_3) | instskip(NEXT) | instid1(VALU_DEP_2)
	v_dual_cndmask_b32 v49, v80, v4, s10 :: v_dual_sub_nc_u32 v48, 32, v3
	v_dual_cndmask_b32 v43, v43, v5, s11 :: v_dual_cndmask_b32 v5, v5, v7, s11
	s_delay_alu instid0(VALU_DEP_2) | instskip(NEXT) | instid1(VALU_DEP_2)
	v_cndmask_b32_e64 v7, v7, v49, s11
	v_alignbit_b32 v80, v43, v5, v48
	v_cndmask_b32_e32 v2, v42, v2, vcc_lo
	v_cmp_eq_u32_e32 vcc_lo, 0, v3
	s_delay_alu instid0(VALU_DEP_4) | instskip(NEXT) | instid1(VALU_DEP_4)
	v_alignbit_b32 v42, v5, v7, v48
	v_cndmask_b32_e32 v3, v80, v43, vcc_lo
	s_delay_alu instid0(VALU_DEP_2) | instskip(NEXT) | instid1(VALU_DEP_2)
	v_dual_cndmask_b32 v2, v4, v2, s10 :: v_dual_cndmask_b32 v4, v42, v5, vcc_lo
	v_bfe_u32 v5, v3, 29, 1
	s_delay_alu instid0(VALU_DEP_2) | instskip(NEXT) | instid1(VALU_DEP_3)
	v_cndmask_b32_e64 v2, v49, v2, s11
	v_alignbit_b32 v42, v3, v4, 30
	s_delay_alu instid0(VALU_DEP_3) | instskip(NEXT) | instid1(VALU_DEP_3)
	v_sub_nc_u32_e32 v43, 0, v5
	v_alignbit_b32 v48, v7, v2, v48
	s_delay_alu instid0(VALU_DEP_2) | instskip(NEXT) | instid1(VALU_DEP_2)
	v_xor_b32_e32 v42, v42, v43
	v_cndmask_b32_e32 v7, v48, v7, vcc_lo
	s_delay_alu instid0(VALU_DEP_2) | instskip(NEXT) | instid1(VALU_DEP_2)
	v_clz_i32_u32_e32 v48, v42
	v_alignbit_b32 v4, v4, v7, 30
	v_alignbit_b32 v2, v7, v2, 30
	s_delay_alu instid0(VALU_DEP_3) | instskip(NEXT) | instid1(VALU_DEP_3)
	v_min_u32_e32 v48, 32, v48
	v_xor_b32_e32 v4, v4, v43
	s_delay_alu instid0(VALU_DEP_2) | instskip(SKIP_1) | instid1(VALU_DEP_2)
	v_dual_sub_nc_u32 v7, 31, v48 :: v_dual_bitop2_b32 v2, v2, v43 bitop3:0x14
	v_lshlrev_b32_e32 v49, 23, v48
	v_alignbit_b32 v42, v42, v4, v7
	v_lshrrev_b32_e32 v43, 29, v3
	s_delay_alu instid0(VALU_DEP_4) | instskip(NEXT) | instid1(VALU_DEP_1)
	v_alignbit_b32 v2, v4, v2, v7
	v_alignbit_b32 v7, v42, v2, 9
	s_delay_alu instid0(VALU_DEP_3) | instskip(NEXT) | instid1(VALU_DEP_2)
	v_dual_lshrrev_b32 v42, 9, v42 :: v_dual_lshlrev_b32 v4, 31, v43
	v_clz_i32_u32_e32 v80, v7
	s_delay_alu instid0(VALU_DEP_2) | instskip(SKIP_1) | instid1(VALU_DEP_2)
	v_or_b32_e32 v43, 0.5, v4
	v_or_b32_e32 v4, 0x33000000, v4
	v_sub_nc_u32_e32 v43, v43, v49
	s_delay_alu instid0(VALU_DEP_4) | instskip(NEXT) | instid1(VALU_DEP_1)
	v_min_u32_e32 v49, 32, v80
	v_add_lshl_u32 v48, v49, v48, 23
	s_delay_alu instid0(VALU_DEP_3) | instskip(SKIP_1) | instid1(VALU_DEP_3)
	v_or_b32_e32 v42, v42, v43
	v_not_b32_e32 v43, v49
	v_sub_nc_u32_e32 v4, v4, v48
	s_delay_alu instid0(VALU_DEP_3) | instskip(NEXT) | instid1(VALU_DEP_3)
	v_mul_f32_e32 v80, 0x3fc90fda, v42
	v_alignbit_b32 v2, v7, v2, v43
	s_delay_alu instid0(VALU_DEP_2) | instskip(NEXT) | instid1(VALU_DEP_2)
	v_fma_f32 v7, 0x3fc90fda, v42, -v80
	v_lshrrev_b32_e32 v2, 9, v2
	s_delay_alu instid0(VALU_DEP_2) | instskip(NEXT) | instid1(VALU_DEP_2)
	v_fmac_f32_e32 v7, 0x33a22168, v42
	v_or_b32_e32 v2, v4, v2
	s_delay_alu instid0(VALU_DEP_1) | instskip(NEXT) | instid1(VALU_DEP_1)
	v_dual_fmac_f32 v7, 0x3fc90fda, v2 :: v_dual_lshrrev_b32 v2, 30, v3
	v_dual_add_f32 v3, v80, v7 :: v_dual_add_nc_u32 v2, v5, v2
.LBB2_47:                               ;   in Loop: Header=BB2_34 Depth=2
	s_or_saveexec_b32 s10, s22
	v_mul_f32_e64 v4, 0x3f22f983, |v82|
	s_delay_alu instid0(VALU_DEP_1)
	v_rndne_f32_e32 v43, v4
	s_xor_b32 exec_lo, exec_lo, s10
; %bb.48:                               ;   in Loop: Header=BB2_34 Depth=2
	s_delay_alu instid0(VALU_DEP_1) | instskip(SKIP_1) | instid1(VALU_DEP_2)
	v_fma_f32 v3, 0xbfc90fda, v43, |v82|
	v_cvt_i32_f32_e32 v2, v43
	v_fmac_f32_e32 v3, 0xb3a22168, v43
	s_delay_alu instid0(VALU_DEP_1)
	v_fmac_f32_e32 v3, 0xa7c234c4, v43
; %bb.49:                               ;   in Loop: Header=BB2_34 Depth=2
	s_or_b32 exec_lo, exec_lo, s10
                                        ; implicit-def: $vgpr7
                                        ; implicit-def: $vgpr42
	s_and_saveexec_b32 s10, s12
	s_delay_alu instid0(SALU_CYCLE_1)
	s_xor_b32 s22, exec_lo, s10
	s_cbranch_execz .LBB2_51
; %bb.50:                               ;   in Loop: Header=BB2_34 Depth=2
	v_mul_u64_e32 v[80:81], s[34:35], v[28:29]
	v_mov_b32_e32 v5, v29
	v_cmp_lt_u32_e32 vcc_lo, 63, v6
	s_delay_alu instid0(VALU_DEP_3) | instskip(NEXT) | instid1(VALU_DEP_1)
	v_mov_b32_e32 v4, v81
	v_mad_nc_u64_u32 v[4:5], 0x3c439041, v28, v[4:5]
	s_delay_alu instid0(VALU_DEP_1) | instskip(SKIP_1) | instid1(VALU_DEP_2)
	v_dual_mov_b32 v43, v29 :: v_dual_mov_b32 v42, v5
	v_cndmask_b32_e64 v5, 0, 0xffffffc0, vcc_lo
	v_mad_nc_u64_u32 v[42:43], 0xdb629599, v28, v[42:43]
	v_mov_b32_e32 v49, v29
	s_delay_alu instid0(VALU_DEP_2) | instskip(NEXT) | instid1(VALU_DEP_1)
	v_dual_mov_b32 v48, v43 :: v_dual_add_nc_u32 v5, v5, v6
	v_mad_nc_u64_u32 v[48:49], 0xf534ddc0, v28, v[48:49]
	s_delay_alu instid0(VALU_DEP_1) | instskip(NEXT) | instid1(VALU_DEP_1)
	v_dual_mov_b32 v89, v29 :: v_dual_mov_b32 v88, v49
	v_mad_nc_u64_u32 v[88:89], 0xfc2757d1, v28, v[88:89]
	s_delay_alu instid0(VALU_DEP_1) | instskip(NEXT) | instid1(VALU_DEP_1)
	v_dual_mov_b32 v91, v29 :: v_dual_mov_b32 v90, v89
	v_mad_nc_u64_u32 v[6:7], 0x4e441529, v28, v[90:91]
	s_delay_alu instid0(VALU_DEP_1) | instskip(SKIP_1) | instid1(VALU_DEP_2)
	v_mov_b32_e32 v90, v7
	v_cmp_lt_u32_e64 s10, 31, v5
	v_mad_nc_u64_u32 v[90:91], 0xa2f9836e, v28, v[90:91]
	s_delay_alu instid0(VALU_DEP_2) | instskip(NEXT) | instid1(VALU_DEP_1)
	v_cndmask_b32_e64 v43, 0, 0xffffffe0, s10
	v_dual_cndmask_b32 v28, v6, v48 :: v_dual_add_nc_u32 v5, v43, v5
	s_delay_alu instid0(VALU_DEP_1) | instskip(NEXT) | instid1(VALU_DEP_4)
	v_cmp_lt_u32_e64 s11, 31, v5
	v_dual_cndmask_b32 v43, v90, v88 :: v_dual_cndmask_b32 v6, v91, v6
	v_cndmask_b32_e32 v4, v48, v4, vcc_lo
	s_delay_alu instid0(VALU_DEP_3) | instskip(NEXT) | instid1(VALU_DEP_3)
	v_cndmask_b32_e64 v7, 0, 0xffffffe0, s11
	v_dual_cndmask_b32 v49, v88, v42, vcc_lo :: v_dual_cndmask_b32 v6, v6, v43, s10
	s_delay_alu instid0(VALU_DEP_2) | instskip(NEXT) | instid1(VALU_DEP_2)
	v_add_nc_u32_e32 v5, v7, v5
	v_dual_cndmask_b32 v7, v43, v28, s10 :: v_dual_cndmask_b32 v28, v28, v49, s10
	s_delay_alu instid0(VALU_DEP_2) | instskip(NEXT) | instid1(VALU_DEP_2)
	v_dual_cndmask_b32 v48, v49, v4, s10 :: v_dual_sub_nc_u32 v43, 32, v5
	v_dual_cndmask_b32 v6, v6, v7, s11 :: v_dual_cndmask_b32 v7, v7, v28, s11
	v_cmp_eq_u32_e64 s12, 0, v5
	s_delay_alu instid0(VALU_DEP_3) | instskip(NEXT) | instid1(VALU_DEP_3)
	v_cndmask_b32_e64 v5, v28, v48, s11
	v_alignbit_b32 v28, v6, v7, v43
	s_delay_alu instid0(VALU_DEP_1) | instskip(NEXT) | instid1(VALU_DEP_3)
	v_cndmask_b32_e64 v6, v28, v6, s12
	v_alignbit_b32 v49, v7, v5, v43
	v_cndmask_b32_e32 v42, v42, v80, vcc_lo
	s_delay_alu instid0(VALU_DEP_3) | instskip(NEXT) | instid1(VALU_DEP_2)
	v_bfe_u32 v28, v6, 29, 1
	v_dual_cndmask_b32 v7, v49, v7, s12 :: v_dual_cndmask_b32 v4, v4, v42, s10
	s_delay_alu instid0(VALU_DEP_1) | instskip(NEXT) | instid1(VALU_DEP_2)
	v_alignbit_b32 v42, v6, v7, 30
	v_cndmask_b32_e64 v4, v48, v4, s11
	s_delay_alu instid0(VALU_DEP_4) | instskip(NEXT) | instid1(VALU_DEP_2)
	v_sub_nc_u32_e32 v48, 0, v28
	v_alignbit_b32 v43, v5, v4, v43
	s_delay_alu instid0(VALU_DEP_1) | instskip(NEXT) | instid1(VALU_DEP_1)
	v_dual_cndmask_b32 v5, v43, v5, s12 :: v_dual_bitop2_b32 v42, v42, v48 bitop3:0x14
	v_clz_i32_u32_e32 v43, v42
	s_delay_alu instid0(VALU_DEP_2) | instskip(NEXT) | instid1(VALU_DEP_2)
	v_alignbit_b32 v7, v7, v5, 30
	v_min_u32_e32 v43, 32, v43
	v_alignbit_b32 v4, v5, v4, 30
	s_delay_alu instid0(VALU_DEP_2) | instskip(NEXT) | instid1(VALU_DEP_2)
	v_dual_sub_nc_u32 v7, 31, v43 :: v_dual_bitop2_b32 v5, v7, v48 bitop3:0x14
	v_dual_lshrrev_b32 v48, 29, v6 :: v_dual_bitop2_b32 v4, v4, v48 bitop3:0x14
	v_lshlrev_b32_e32 v49, 23, v43
	s_delay_alu instid0(VALU_DEP_3) | instskip(NEXT) | instid1(VALU_DEP_3)
	v_alignbit_b32 v42, v42, v5, v7
	v_alignbit_b32 v4, v5, v4, v7
	s_delay_alu instid0(VALU_DEP_4) | instskip(NEXT) | instid1(VALU_DEP_2)
	v_lshlrev_b32_e32 v5, 31, v48
	v_alignbit_b32 v7, v42, v4, 9
	s_delay_alu instid0(VALU_DEP_2) | instskip(SKIP_1) | instid1(VALU_DEP_3)
	v_dual_lshrrev_b32 v42, 9, v42 :: v_dual_bitop2_b32 v48, 0.5, v5 bitop3:0x54
	v_or_b32_e32 v5, 0x33000000, v5
	v_clz_i32_u32_e32 v80, v7
	s_delay_alu instid0(VALU_DEP_3) | instskip(NEXT) | instid1(VALU_DEP_2)
	v_sub_nc_u32_e32 v48, v48, v49
	v_min_u32_e32 v49, 32, v80
	s_delay_alu instid0(VALU_DEP_1) | instskip(NEXT) | instid1(VALU_DEP_3)
	v_add_lshl_u32 v43, v49, v43, 23
	v_or_b32_e32 v42, v42, v48
	v_not_b32_e32 v48, v49
	s_delay_alu instid0(VALU_DEP_3) | instskip(NEXT) | instid1(VALU_DEP_2)
	v_sub_nc_u32_e32 v5, v5, v43
                                        ; implicit-def: $vgpr43
	v_alignbit_b32 v4, v7, v4, v48
	s_delay_alu instid0(VALU_DEP_1) | instskip(NEXT) | instid1(VALU_DEP_1)
	v_lshrrev_b32_e32 v4, 9, v4
	v_or_b32_e32 v4, v5, v4
	v_mul_f32_e32 v80, 0x3fc90fda, v42
	s_delay_alu instid0(VALU_DEP_1) | instskip(NEXT) | instid1(VALU_DEP_1)
	v_fma_f32 v7, 0x3fc90fda, v42, -v80
	v_fmac_f32_e32 v7, 0x33a22168, v42
	s_delay_alu instid0(VALU_DEP_1) | instskip(NEXT) | instid1(VALU_DEP_1)
	v_dual_fmac_f32 v7, 0x3fc90fda, v4 :: v_dual_lshrrev_b32 v4, 30, v6
	v_add_f32_e32 v42, v80, v7
	s_delay_alu instid0(VALU_DEP_2)
	v_add_nc_u32_e32 v7, v28, v4
	s_and_not1_saveexec_b32 s10, s22
	s_cbranch_execnz .LBB2_52
	s_branch .LBB2_53
.LBB2_51:                               ;   in Loop: Header=BB2_34 Depth=2
	s_and_not1_saveexec_b32 s10, s22
.LBB2_52:                               ;   in Loop: Header=BB2_34 Depth=2
	v_fma_f32 v42, 0xbfc90fda, v43, |v82|
	v_cvt_i32_f32_e32 v7, v43
	s_delay_alu instid0(VALU_DEP_2) | instskip(NEXT) | instid1(VALU_DEP_1)
	v_fmac_f32_e32 v42, 0xb3a22168, v43
	v_fmac_f32_e32 v42, 0xa7c234c4, v43
.LBB2_53:                               ;   in Loop: Header=BB2_34 Depth=2
	s_or_b32 exec_lo, exec_lo, s10
	v_mul_f32_e32 v4, v82, v82
	s_delay_alu instid0(VALU_DEP_1) | instskip(SKIP_1) | instid1(VALU_DEP_1)
	v_cmp_gt_f32_e32 vcc_lo, 0x800000, v4
	v_cndmask_b32_e64 v5, 0, 32, vcc_lo
	v_ldexp_f32 v4, v4, v5
	s_delay_alu instid0(VALU_DEP_1) | instskip(SKIP_1) | instid1(TRANS32_DEP_1)
	v_log_f32_e32 v4, v4
	v_nop
	v_mul_f32_e32 v5, 0x3e9a209a, v4
	v_cmp_gt_f32_e64 s10, 0x7f800000, |v4|
	s_delay_alu instid0(VALU_DEP_2) | instskip(NEXT) | instid1(VALU_DEP_1)
	v_fma_f32 v5, 0x3e9a209a, v4, -v5
	v_fmac_f32_e32 v5, 0x3284fbcf, v4
	s_delay_alu instid0(VALU_DEP_1) | instskip(NEXT) | instid1(VALU_DEP_1)
	v_fmac_f32_e32 v5, 0x3e9a209a, v4
	v_cndmask_b32_e64 v4, v4, v5, s10
	v_cndmask_b32_e64 v5, 0, 0x411a209b, vcc_lo
	s_delay_alu instid0(VALU_DEP_1) | instskip(NEXT) | instid1(VALU_DEP_1)
	v_dual_sub_f32 v4, v4, v5 :: v_dual_mul_f32 v5, v3, v3
	v_fmaak_f32 v6, s54, v5, 0x3c0881c4
	s_delay_alu instid0(VALU_DEP_1) | instskip(NEXT) | instid1(VALU_DEP_1)
	v_fmaak_f32 v6, v5, v6, 0xbe2aaa9d
	v_mul_f32_e32 v6, v5, v6
	s_delay_alu instid0(VALU_DEP_1) | instskip(NEXT) | instid1(VALU_DEP_1)
	v_dual_fmac_f32 v3, v3, v6 :: v_dual_fmaak_f32 v6, s56, v5, 0xbab64f3b
	v_fmaak_f32 v6, v5, v6, 0x3d2aabf7
	s_delay_alu instid0(VALU_DEP_1) | instskip(NEXT) | instid1(VALU_DEP_1)
	v_fmaak_f32 v6, v5, v6, 0xbf000004
	v_fma_f32 v5, v5, v6, 1.0
	v_dual_lshlrev_b32 v2, 30, v2 :: v_dual_bitop2_b32 v6, 1, v2 bitop3:0x40
	s_delay_alu instid0(VALU_DEP_1) | instskip(NEXT) | instid1(VALU_DEP_3)
	v_cmp_eq_u32_e32 vcc_lo, 0, v6
	v_cndmask_b32_e64 v3, -v3, v5, vcc_lo
	v_cmp_class_f32_e64 vcc_lo, v82, 0x1f8
	v_xor_b32_e32 v5, v83, v82
	s_delay_alu instid0(VALU_DEP_3) | instskip(SKIP_1) | instid1(VALU_DEP_2)
	v_bitop3_b32 v2, v2, v3, 0x80000000 bitop3:0x6c
	v_mul_f32_e32 v3, v42, v42
	v_cndmask_b32_e32 v2, 0x7fc00000, v2, vcc_lo
	s_delay_alu instid0(VALU_DEP_1) | instskip(NEXT) | instid1(VALU_DEP_3)
	v_add_f32_e32 v2, v4, v2
	v_fmaak_f32 v4, s54, v3, 0x3c0881c4
	s_delay_alu instid0(VALU_DEP_2) | instskip(NEXT) | instid1(VALU_DEP_2)
	v_mul_f32_e32 v80, v38, v2
	v_fmaak_f32 v4, v3, v4, 0xbe2aaa9d
	s_delay_alu instid0(VALU_DEP_1) | instskip(NEXT) | instid1(VALU_DEP_1)
	v_mul_f32_e32 v4, v3, v4
	v_fmac_f32_e32 v42, v42, v4
	v_fmaak_f32 v4, s56, v3, 0xbab64f3b
	s_delay_alu instid0(VALU_DEP_1) | instskip(NEXT) | instid1(VALU_DEP_1)
	v_fmaak_f32 v4, v3, v4, 0x3d2aabf7
	v_fmaak_f32 v4, v3, v4, 0xbf000004
	s_delay_alu instid0(VALU_DEP_1) | instskip(SKIP_1) | instid1(VALU_DEP_1)
	v_fma_f32 v3, v3, v4, 1.0
	v_and_b32_e32 v4, 1, v7
	v_cmp_eq_u32_e64 s10, 0, v4
	s_delay_alu instid0(VALU_DEP_1) | instskip(NEXT) | instid1(VALU_DEP_1)
	v_dual_lshlrev_b32 v4, 30, v7 :: v_dual_cndmask_b32 v3, v3, v42, s10
	v_and_b32_e32 v4, 0x80000000, v4
	s_delay_alu instid0(VALU_DEP_1) | instskip(NEXT) | instid1(VALU_DEP_1)
	v_xor3_b32 v3, v5, v4, v3
	v_mul_f32_e32 v3, 0x40490fdb, v3
	s_delay_alu instid0(VALU_DEP_1) | instskip(NEXT) | instid1(VALU_DEP_1)
	v_cndmask_b32_e32 v3, 0x7fc00000, v3, vcc_lo
	v_sub_f32_e32 v81, v2, v3
.LBB2_54:                               ;   in Loop: Header=BB2_34 Depth=2
	s_or_b32 exec_lo, exec_lo, s21
.LBB2_55:                               ;   in Loop: Header=BB2_34 Depth=2
	s_and_not1_saveexec_b32 s18, s18
	s_cbranch_execz .LBB2_61
; %bb.56:                               ;   in Loop: Header=BB2_34 Depth=2
	v_mul_f32_e32 v2, v40, v14
                                        ; implicit-def: $vgpr3
                                        ; implicit-def: $vgpr4
	s_mov_b32 s11, exec_lo
	s_delay_alu instid0(VALU_DEP_1)
	v_cmpx_ngt_f32_e64 0x48000000, |v2|
	s_xor_b32 s21, exec_lo, s11
	s_cbranch_execz .LBB2_58
; %bb.57:                               ;   in Loop: Header=BB2_34 Depth=2
	v_and_b32_e32 v3, 0x7fffffff, v2
	v_dual_mov_b32 v49, v29 :: v_dual_mov_b32 v89, v29
	v_mov_b32_e32 v43, v29
	s_delay_alu instid0(VALU_DEP_3) | instskip(SKIP_1) | instid1(VALU_DEP_1)
	v_and_or_b32 v28, v3, s49, 0x800000
	s_wait_loadcnt 0x0
	v_mul_u64_e32 v[80:81], s[34:35], v[28:29]
	s_delay_alu instid0(VALU_DEP_1) | instskip(NEXT) | instid1(VALU_DEP_1)
	v_dual_mov_b32 v5, v29 :: v_dual_mov_b32 v4, v81
	v_mad_nc_u64_u32 v[4:5], 0x3c439041, v28, v[4:5]
	s_delay_alu instid0(VALU_DEP_1) | instskip(NEXT) | instid1(VALU_DEP_1)
	v_dual_mov_b32 v7, v29 :: v_dual_mov_b32 v6, v5
	v_mad_nc_u64_u32 v[82:83], 0xdb629599, v28, v[6:7]
	s_delay_alu instid0(VALU_DEP_1) | instskip(NEXT) | instid1(VALU_DEP_1)
	v_mov_b32_e32 v6, v83
	v_mad_nc_u64_u32 v[6:7], 0xf534ddc0, v28, v[6:7]
	s_delay_alu instid0(VALU_DEP_1) | instskip(NEXT) | instid1(VALU_DEP_1)
	v_dual_mov_b32 v42, v7 :: v_dual_lshrrev_b32 v3, 23, v3
	v_mad_nc_u64_u32 v[42:43], 0xfc2757d1, v28, v[42:43]
	s_delay_alu instid0(VALU_DEP_1) | instskip(NEXT) | instid1(VALU_DEP_1)
	v_dual_mov_b32 v48, v43 :: v_dual_add_nc_u32 v3, 0xffffff88, v3
	v_cmp_lt_u32_e32 vcc_lo, 63, v3
	s_delay_alu instid0(VALU_DEP_2) | instskip(SKIP_1) | instid1(VALU_DEP_1)
	v_mad_nc_u64_u32 v[48:49], 0x4e441529, v28, v[48:49]
	v_cndmask_b32_e64 v5, 0, 0xffffffc0, vcc_lo
	v_dual_cndmask_b32 v4, v6, v4 :: v_dual_add_nc_u32 v3, v5, v3
	s_delay_alu instid0(VALU_DEP_3) | instskip(NEXT) | instid1(VALU_DEP_2)
	v_dual_cndmask_b32 v7, v48, v6 :: v_dual_mov_b32 v88, v49
	v_cmp_lt_u32_e64 s10, 31, v3
	s_delay_alu instid0(VALU_DEP_2) | instskip(NEXT) | instid1(VALU_DEP_2)
	v_mad_nc_u64_u32 v[88:89], 0xa2f9836e, v28, v[88:89]
	v_cndmask_b32_e64 v5, 0, 0xffffffe0, s10
	s_delay_alu instid0(VALU_DEP_1) | instskip(NEXT) | instid1(VALU_DEP_1)
	v_dual_cndmask_b32 v28, v88, v42 :: v_dual_add_nc_u32 v3, v5, v3
	v_cmp_lt_u32_e64 s11, 31, v3
	s_delay_alu instid0(VALU_DEP_4) | instskip(NEXT) | instid1(VALU_DEP_2)
	v_dual_cndmask_b32 v43, v89, v48 :: v_dual_cndmask_b32 v42, v42, v82
	v_cndmask_b32_e64 v5, 0, 0xffffffe0, s11
	s_delay_alu instid0(VALU_DEP_1) | instskip(NEXT) | instid1(VALU_DEP_3)
	v_add_nc_u32_e32 v3, v5, v3
	v_dual_cndmask_b32 v5, v28, v7, s10 :: v_dual_cndmask_b32 v6, v43, v28, s10
	s_delay_alu instid0(VALU_DEP_4) | instskip(NEXT) | instid1(VALU_DEP_3)
	v_dual_cndmask_b32 v7, v7, v42, s10 :: v_dual_cndmask_b32 v42, v42, v4, s10
	v_sub_nc_u32_e32 v28, 32, v3
	v_cmp_eq_u32_e64 s12, 0, v3
	s_delay_alu instid0(VALU_DEP_3) | instskip(NEXT) | instid1(VALU_DEP_4)
	v_dual_cndmask_b32 v6, v6, v5, s11 :: v_dual_cndmask_b32 v5, v5, v7, s11
	v_dual_cndmask_b32 v3, v7, v42, s11 :: v_dual_cndmask_b32 v43, v82, v80, vcc_lo
	s_delay_alu instid0(VALU_DEP_2) | instskip(NEXT) | instid1(VALU_DEP_2)
	v_alignbit_b32 v7, v6, v5, v28
	v_alignbit_b32 v48, v5, v3, v28
	s_delay_alu instid0(VALU_DEP_2) | instskip(NEXT) | instid1(VALU_DEP_1)
	v_dual_cndmask_b32 v4, v4, v43, s10 :: v_dual_cndmask_b32 v6, v7, v6, s12
	v_dual_cndmask_b32 v5, v48, v5, s12 :: v_dual_cndmask_b32 v4, v42, v4, s11
	s_delay_alu instid0(VALU_DEP_2) | instskip(NEXT) | instid1(VALU_DEP_2)
	v_bfe_u32 v7, v6, 29, 1
	v_alignbit_b32 v42, v6, v5, 30
	s_delay_alu instid0(VALU_DEP_3) | instskip(NEXT) | instid1(VALU_DEP_3)
	v_alignbit_b32 v28, v3, v4, v28
	v_sub_nc_u32_e32 v43, 0, v7
	s_delay_alu instid0(VALU_DEP_2) | instskip(NEXT) | instid1(VALU_DEP_2)
	v_cndmask_b32_e64 v3, v28, v3, s12
	v_xor_b32_e32 v42, v42, v43
	s_delay_alu instid0(VALU_DEP_2) | instskip(SKIP_1) | instid1(VALU_DEP_3)
	v_alignbit_b32 v5, v5, v3, 30
	v_alignbit_b32 v3, v3, v4, 30
	v_clz_i32_u32_e32 v28, v42
	s_delay_alu instid0(VALU_DEP_1) | instskip(NEXT) | instid1(VALU_DEP_1)
	v_min_u32_e32 v28, 32, v28
	v_dual_lshlrev_b32 v48, 23, v28 :: v_dual_bitop2_b32 v4, v5, v43 bitop3:0x14
	s_delay_alu instid0(VALU_DEP_4) | instskip(SKIP_1) | instid1(VALU_DEP_2)
	v_dual_sub_nc_u32 v5, 31, v28 :: v_dual_bitop2_b32 v3, v3, v43 bitop3:0x14
	v_lshrrev_b32_e32 v43, 29, v6
	v_alignbit_b32 v42, v42, v4, v5
	s_delay_alu instid0(VALU_DEP_3) | instskip(NEXT) | instid1(VALU_DEP_3)
	v_alignbit_b32 v3, v4, v3, v5
	v_lshlrev_b32_e32 v4, 31, v43
	s_delay_alu instid0(VALU_DEP_2) | instskip(NEXT) | instid1(VALU_DEP_2)
	v_alignbit_b32 v5, v42, v3, 9
	v_dual_lshrrev_b32 v42, 9, v42 :: v_dual_bitop2_b32 v43, 0.5, v4 bitop3:0x54
	v_or_b32_e32 v4, 0x33000000, v4
	s_delay_alu instid0(VALU_DEP_3) | instskip(NEXT) | instid1(VALU_DEP_3)
	v_clz_i32_u32_e32 v49, v5
	v_sub_nc_u32_e32 v43, v43, v48
	s_delay_alu instid0(VALU_DEP_2) | instskip(NEXT) | instid1(VALU_DEP_1)
	v_min_u32_e32 v48, 32, v49
	v_add_lshl_u32 v28, v48, v28, 23
	s_delay_alu instid0(VALU_DEP_3) | instskip(SKIP_1) | instid1(VALU_DEP_2)
	v_or_b32_e32 v42, v42, v43
	v_not_b32_e32 v43, v48
	v_dual_mul_f32 v49, 0x3fc90fda, v42 :: v_dual_sub_nc_u32 v4, v4, v28
	s_delay_alu instid0(VALU_DEP_2) | instskip(NEXT) | instid1(VALU_DEP_2)
	v_alignbit_b32 v3, v5, v3, v43
	v_fma_f32 v5, 0x3fc90fda, v42, -v49
	s_delay_alu instid0(VALU_DEP_2) | instskip(NEXT) | instid1(VALU_DEP_2)
	v_lshrrev_b32_e32 v3, 9, v3
	v_fmac_f32_e32 v5, 0x33a22168, v42
	s_delay_alu instid0(VALU_DEP_2) | instskip(NEXT) | instid1(VALU_DEP_1)
	v_or_b32_e32 v3, v4, v3
	v_fmac_f32_e32 v5, 0x3fc90fda, v3
	s_delay_alu instid0(VALU_DEP_1) | instskip(NEXT) | instid1(VALU_DEP_1)
	v_dual_add_f32 v4, v49, v5 :: v_dual_lshrrev_b32 v3, 30, v6
	v_add_nc_u32_e32 v3, v7, v3
.LBB2_58:                               ;   in Loop: Header=BB2_34 Depth=2
	s_and_not1_saveexec_b32 s10, s21
; %bb.59:                               ;   in Loop: Header=BB2_34 Depth=2
	v_mul_f32_e64 v3, 0x3f22f983, |v2|
	s_delay_alu instid0(VALU_DEP_1) | instskip(NEXT) | instid1(VALU_DEP_1)
	v_rndne_f32_e32 v3, v3
	v_fma_f32 v4, 0xbfc90fda, v3, |v2|
	s_delay_alu instid0(VALU_DEP_1) | instskip(NEXT) | instid1(VALU_DEP_1)
	v_fmac_f32_e32 v4, 0xb3a22168, v3
	v_fmac_f32_e32 v4, 0xa7c234c4, v3
	v_cvt_i32_f32_e32 v3, v3
; %bb.60:                               ;   in Loop: Header=BB2_34 Depth=2
	s_or_b32 exec_lo, exec_lo, s10
	s_wait_loadcnt 0x0
	s_delay_alu instid0(VALU_DEP_2) | instskip(NEXT) | instid1(VALU_DEP_1)
	v_dual_mul_f32 v5, v4, v4 :: v_dual_mov_b32 v80, v38
	v_fmaak_f32 v6, s54, v5, 0x3c0881c4
	s_delay_alu instid0(VALU_DEP_1) | instskip(NEXT) | instid1(VALU_DEP_1)
	v_fmaak_f32 v6, v5, v6, 0xbe2aaa9d
	v_mul_f32_e32 v6, v5, v6
	s_delay_alu instid0(VALU_DEP_1) | instskip(SKIP_1) | instid1(VALU_DEP_1)
	v_fmac_f32_e32 v4, v4, v6
	v_fmaak_f32 v6, s56, v5, 0xbab64f3b
	v_fmaak_f32 v6, v5, v6, 0x3d2aabf7
	s_delay_alu instid0(VALU_DEP_1) | instskip(NEXT) | instid1(VALU_DEP_1)
	v_fmaak_f32 v6, v5, v6, 0xbf000004
	v_fma_f32 v5, v5, v6, 1.0
	v_dual_lshlrev_b32 v3, 30, v3 :: v_dual_bitop2_b32 v6, 1, v3 bitop3:0x40
	s_delay_alu instid0(VALU_DEP_1) | instskip(NEXT) | instid1(VALU_DEP_3)
	v_cmp_eq_u32_e32 vcc_lo, 0, v6
	v_cndmask_b32_e64 v4, -v4, v5, vcc_lo
	v_cmp_class_f32_e64 vcc_lo, v2, 0x1f8
	s_delay_alu instid0(VALU_DEP_2) | instskip(NEXT) | instid1(VALU_DEP_1)
	v_bitop3_b32 v3, v3, v4, 0x80000000 bitop3:0x6c
	v_cndmask_b32_e32 v2, 0x7fc00000, v3, vcc_lo
	s_delay_alu instid0(VALU_DEP_1) | instskip(NEXT) | instid1(VALU_DEP_1)
	v_mul_f32_e32 v2, v14, v2
	v_div_scale_f32 v3, null, v2, v2, 1.0
	s_delay_alu instid0(VALU_DEP_1) | instskip(SKIP_1) | instid1(TRANS32_DEP_1)
	v_rcp_f32_e32 v4, v3
	v_nop
	v_fma_f32 v5, -v3, v4, 1.0
	s_delay_alu instid0(VALU_DEP_1) | instskip(SKIP_1) | instid1(VALU_DEP_1)
	v_fmac_f32_e32 v4, v5, v4
	v_div_scale_f32 v5, vcc_lo, 1.0, v2, 1.0
	v_mul_f32_e32 v6, v5, v4
	s_delay_alu instid0(VALU_DEP_1) | instskip(NEXT) | instid1(VALU_DEP_1)
	v_fma_f32 v7, -v3, v6, v5
	v_fmac_f32_e32 v6, v7, v4
	s_delay_alu instid0(VALU_DEP_1) | instskip(NEXT) | instid1(VALU_DEP_1)
	v_fma_f32 v3, -v3, v6, v5
	v_div_fmas_f32 v3, v3, v4, v6
	s_delay_alu instid0(VALU_DEP_1)
	v_div_fixup_f32 v81, v3, v2, 1.0
.LBB2_61:                               ;   in Loop: Header=BB2_34 Depth=2
	s_or_b32 exec_lo, exec_lo, s18
                                        ; implicit-def: $vgpr2
.LBB2_62:                               ;   in Loop: Header=BB2_34 Depth=2
	s_and_not1_saveexec_b32 s17, s17
	s_cbranch_execz .LBB2_88
; %bb.63:                               ;   in Loop: Header=BB2_34 Depth=2
                                        ; implicit-def: $vgpr81
	s_mov_b32 s10, exec_lo
	v_cmpx_lt_i32_e32 44, v2
	s_xor_b32 s18, exec_lo, s10
	s_cbranch_execz .LBB2_81
; %bb.64:                               ;   in Loop: Header=BB2_34 Depth=2
	global_load_b32 v2, v[24:25], off
                                        ; implicit-def: $vgpr89
                                        ; implicit-def: $vgpr88
	s_wait_loadcnt 0x0
	v_mul_f32_e32 v2, v40, v2
	s_delay_alu instid0(VALU_DEP_1) | instskip(NEXT) | instid1(VALU_DEP_1)
	v_mul_f32_e32 v82, v14, v2
	v_and_b32_e32 v83, 0x7fffffff, v82
	s_delay_alu instid0(VALU_DEP_1) | instskip(SKIP_2) | instid1(VALU_DEP_3)
	v_lshrrev_b32_e32 v2, 23, v83
	v_cmp_ngt_f32_e64 s12, 0x48000000, |v82|
	v_and_or_b32 v28, v83, s49, 0x800000
	v_add_nc_u32_e32 v92, 0xffffff88, v2
	s_wait_xcnt 0x0
	s_and_saveexec_b32 s10, s12
	s_delay_alu instid0(SALU_CYCLE_1)
	s_xor_b32 s21, exec_lo, s10
	s_cbranch_execz .LBB2_66
; %bb.65:                               ;   in Loop: Header=BB2_34 Depth=2
	v_mul_u64_e32 v[2:3], s[34:35], v[28:29]
	v_mov_b32_e32 v5, v29
	v_cmp_lt_u32_e32 vcc_lo, 63, v92
	s_delay_alu instid0(VALU_DEP_3) | instskip(SKIP_1) | instid1(VALU_DEP_2)
	v_dual_mov_b32 v89, v29 :: v_dual_mov_b32 v4, v3
	v_cndmask_b32_e64 v3, 0, 0xffffffc0, vcc_lo
	v_mad_nc_u64_u32 v[4:5], 0x3c439041, v28, v[4:5]
	s_delay_alu instid0(VALU_DEP_2) | instskip(NEXT) | instid1(VALU_DEP_1)
	v_dual_mov_b32 v7, v29 :: v_dual_add_nc_u32 v3, v3, v92
	v_cmp_lt_u32_e64 s10, 31, v3
	s_delay_alu instid0(VALU_DEP_3) | instskip(NEXT) | instid1(VALU_DEP_2)
	v_mov_b32_e32 v6, v5
	v_cndmask_b32_e64 v5, 0, 0xffffffe0, s10
	s_delay_alu instid0(VALU_DEP_2) | instskip(NEXT) | instid1(VALU_DEP_1)
	v_mad_nc_u64_u32 v[6:7], 0xdb629599, v28, v[6:7]
	v_dual_mov_b32 v43, v29 :: v_dual_mov_b32 v42, v7
	s_delay_alu instid0(VALU_DEP_1) | instskip(NEXT) | instid1(VALU_DEP_1)
	v_mad_nc_u64_u32 v[42:43], 0xf534ddc0, v28, v[42:43]
	v_dual_mov_b32 v49, v29 :: v_dual_mov_b32 v48, v43
	s_delay_alu instid0(VALU_DEP_2) | instskip(NEXT) | instid1(VALU_DEP_2)
	v_cndmask_b32_e32 v4, v42, v4, vcc_lo
	v_mad_nc_u64_u32 v[48:49], 0xfc2757d1, v28, v[48:49]
	s_delay_alu instid0(VALU_DEP_1) | instskip(NEXT) | instid1(VALU_DEP_1)
	v_dual_mov_b32 v81, v29 :: v_dual_mov_b32 v80, v49
	v_mad_nc_u64_u32 v[80:81], 0x4e441529, v28, v[80:81]
	s_delay_alu instid0(VALU_DEP_1) | instskip(NEXT) | instid1(VALU_DEP_1)
	v_dual_mov_b32 v88, v81 :: v_dual_cndmask_b32 v7, v80, v42
	v_mad_nc_u64_u32 v[88:89], 0xa2f9836e, v28, v[88:89]
	s_delay_alu instid0(VALU_DEP_1) | instskip(NEXT) | instid1(VALU_DEP_1)
	v_dual_add_nc_u32 v3, v5, v3 :: v_dual_cndmask_b32 v43, v88, v48, vcc_lo
	v_cmp_lt_u32_e64 s11, 31, v3
	s_delay_alu instid0(VALU_DEP_3) | instskip(NEXT) | instid1(VALU_DEP_2)
	v_dual_cndmask_b32 v49, v89, v80 :: v_dual_cndmask_b32 v48, v48, v6
	v_cndmask_b32_e64 v5, 0, 0xffffffe0, s11
	s_delay_alu instid0(VALU_DEP_2) | instskip(NEXT) | instid1(VALU_DEP_2)
	v_cndmask_b32_e64 v42, v49, v43, s10
	v_add_nc_u32_e32 v3, v5, v3
	v_cndmask_b32_e64 v5, v43, v7, s10
	v_cndmask_b32_e64 v7, v7, v48, s10
	s_delay_alu instid0(VALU_DEP_3) | instskip(NEXT) | instid1(VALU_DEP_2)
	v_dual_cndmask_b32 v48, v48, v4, s10 :: v_dual_sub_nc_u32 v43, 32, v3
	v_dual_cndmask_b32 v42, v42, v5, s11 :: v_dual_cndmask_b32 v5, v5, v7, s11
	s_delay_alu instid0(VALU_DEP_2) | instskip(SKIP_1) | instid1(VALU_DEP_3)
	v_dual_cndmask_b32 v7, v7, v48, s11 :: v_dual_cndmask_b32 v2, v6, v2, vcc_lo
	v_cmp_eq_u32_e32 vcc_lo, 0, v3
	v_alignbit_b32 v49, v42, v5, v43
	s_delay_alu instid0(VALU_DEP_3) | instskip(NEXT) | instid1(VALU_DEP_4)
	v_alignbit_b32 v6, v5, v7, v43
	v_cndmask_b32_e64 v2, v4, v2, s10
	s_delay_alu instid0(VALU_DEP_2) | instskip(NEXT) | instid1(VALU_DEP_2)
	v_dual_cndmask_b32 v3, v49, v42 :: v_dual_cndmask_b32 v4, v6, v5
	v_cndmask_b32_e64 v2, v48, v2, s11
	s_delay_alu instid0(VALU_DEP_2) | instskip(NEXT) | instid1(VALU_DEP_2)
	v_bfe_u32 v5, v3, 29, 1
	v_alignbit_b32 v43, v7, v2, v43
	s_delay_alu instid0(VALU_DEP_2) | instskip(SKIP_1) | instid1(VALU_DEP_1)
	v_sub_nc_u32_e32 v42, 0, v5
	v_alignbit_b32 v6, v3, v4, 30
	v_dual_cndmask_b32 v7, v43, v7, vcc_lo :: v_dual_bitop2_b32 v6, v6, v42 bitop3:0x14
	s_delay_alu instid0(VALU_DEP_1) | instskip(SKIP_1) | instid1(VALU_DEP_2)
	v_alignbit_b32 v4, v4, v7, 30
	v_alignbit_b32 v2, v7, v2, 30
	v_xor_b32_e32 v4, v4, v42
	s_delay_alu instid0(VALU_DEP_2) | instskip(SKIP_1) | instid1(VALU_DEP_1)
	v_dual_lshrrev_b32 v42, 29, v3 :: v_dual_bitop2_b32 v2, v2, v42 bitop3:0x14
	v_clz_i32_u32_e32 v43, v6
	v_min_u32_e32 v43, 32, v43
	s_delay_alu instid0(VALU_DEP_1) | instskip(NEXT) | instid1(VALU_DEP_1)
	v_dual_sub_nc_u32 v7, 31, v43 :: v_dual_lshlrev_b32 v48, 23, v43
	v_alignbit_b32 v6, v6, v4, v7
	v_alignbit_b32 v2, v4, v2, v7
	v_lshlrev_b32_e32 v4, 31, v42
	s_delay_alu instid0(VALU_DEP_2) | instskip(NEXT) | instid1(VALU_DEP_2)
	v_alignbit_b32 v7, v6, v2, 9
	v_dual_lshrrev_b32 v6, 9, v6 :: v_dual_bitop2_b32 v42, 0.5, v4 bitop3:0x54
	v_or_b32_e32 v4, 0x33000000, v4
	s_delay_alu instid0(VALU_DEP_3) | instskip(NEXT) | instid1(VALU_DEP_3)
	v_clz_i32_u32_e32 v49, v7
	v_sub_nc_u32_e32 v42, v42, v48
	s_delay_alu instid0(VALU_DEP_2) | instskip(NEXT) | instid1(VALU_DEP_1)
	v_min_u32_e32 v48, 32, v49
	v_add_lshl_u32 v43, v48, v43, 23
	s_delay_alu instid0(VALU_DEP_3) | instskip(SKIP_1) | instid1(VALU_DEP_2)
	v_or_b32_e32 v6, v6, v42
	v_not_b32_e32 v42, v48
	v_dual_mul_f32 v49, 0x3fc90fda, v6 :: v_dual_sub_nc_u32 v4, v4, v43
	s_delay_alu instid0(VALU_DEP_2) | instskip(NEXT) | instid1(VALU_DEP_2)
	v_alignbit_b32 v2, v7, v2, v42
	v_fma_f32 v7, 0x3fc90fda, v6, -v49
	s_delay_alu instid0(VALU_DEP_2) | instskip(NEXT) | instid1(VALU_DEP_2)
	v_lshrrev_b32_e32 v2, 9, v2
	v_fmac_f32_e32 v7, 0x33a22168, v6
	s_delay_alu instid0(VALU_DEP_2) | instskip(NEXT) | instid1(VALU_DEP_1)
	v_or_b32_e32 v2, v4, v2
	v_dual_fmac_f32 v7, 0x3fc90fda, v2 :: v_dual_lshrrev_b32 v2, 30, v3
	s_delay_alu instid0(VALU_DEP_1) | instskip(NEXT) | instid1(VALU_DEP_2)
	v_add_f32_e32 v88, v49, v7
	v_add_nc_u32_e32 v89, v5, v2
.LBB2_66:                               ;   in Loop: Header=BB2_34 Depth=2
	s_or_saveexec_b32 s10, s21
	v_mul_f32_e64 v2, 0x3f22f983, |v82|
	s_delay_alu instid0(VALU_DEP_1)
	v_rndne_f32_e32 v2, v2
	s_xor_b32 exec_lo, exec_lo, s10
; %bb.67:                               ;   in Loop: Header=BB2_34 Depth=2
	s_delay_alu instid0(VALU_DEP_1) | instskip(SKIP_1) | instid1(VALU_DEP_2)
	v_fma_f32 v88, 0xbfc90fda, v2, |v82|
	v_cvt_i32_f32_e32 v89, v2
	v_fmac_f32_e32 v88, 0xb3a22168, v2
	s_delay_alu instid0(VALU_DEP_1)
	v_fmac_f32_e32 v88, 0xa7c234c4, v2
; %bb.68:                               ;   in Loop: Header=BB2_34 Depth=2
	s_or_b32 exec_lo, exec_lo, s10
                                        ; implicit-def: $vgpr91
                                        ; implicit-def: $vgpr90
	s_and_saveexec_b32 s10, s12
	s_delay_alu instid0(SALU_CYCLE_1)
	s_xor_b32 s21, exec_lo, s10
	s_cbranch_execz .LBB2_70
; %bb.69:                               ;   in Loop: Header=BB2_34 Depth=2
	v_mul_u64_e32 v[4:5], s[34:35], v[28:29]
	v_mov_b32_e32 v7, v29
	v_cmp_lt_u32_e32 vcc_lo, 63, v92
	v_mov_b32_e32 v95, v29
	v_cndmask_b32_e64 v3, 0, 0xffffffc0, vcc_lo
	s_delay_alu instid0(VALU_DEP_1) | instskip(NEXT) | instid1(VALU_DEP_1)
	v_add_nc_u32_e32 v3, v3, v92
	v_cmp_lt_u32_e64 s10, 31, v3
	v_mov_b32_e32 v6, v5
	s_delay_alu instid0(VALU_DEP_2) | instskip(NEXT) | instid1(VALU_DEP_2)
	v_cndmask_b32_e64 v5, 0, 0xffffffe0, s10
	v_mad_nc_u64_u32 v[6:7], 0x3c439041, v28, v[6:7]
	v_mov_b32_e32 v43, v29
	s_delay_alu instid0(VALU_DEP_3) | instskip(NEXT) | instid1(VALU_DEP_1)
	v_add_nc_u32_e32 v3, v5, v3
	v_cmp_lt_u32_e64 s11, 31, v3
	s_delay_alu instid0(VALU_DEP_4) | instskip(NEXT) | instid1(VALU_DEP_2)
	v_mov_b32_e32 v42, v7
	v_cndmask_b32_e64 v5, 0, 0xffffffe0, s11
	s_delay_alu instid0(VALU_DEP_2) | instskip(NEXT) | instid1(VALU_DEP_1)
	v_mad_nc_u64_u32 v[42:43], 0xdb629599, v28, v[42:43]
	v_dual_mov_b32 v49, v29 :: v_dual_mov_b32 v48, v43
	s_delay_alu instid0(VALU_DEP_1) | instskip(SKIP_1) | instid1(VALU_DEP_2)
	v_mad_nc_u64_u32 v[48:49], 0xf534ddc0, v28, v[48:49]
	v_mov_b32_e32 v81, v29
	v_dual_add_nc_u32 v3, v5, v3 :: v_dual_cndmask_b32 v5, v48, v6, vcc_lo
	s_delay_alu instid0(VALU_DEP_3) | instskip(NEXT) | instid1(VALU_DEP_1)
	v_mov_b32_e32 v80, v49
	v_mad_nc_u64_u32 v[80:81], 0xfc2757d1, v28, v[80:81]
	s_delay_alu instid0(VALU_DEP_1) | instskip(NEXT) | instid1(VALU_DEP_1)
	v_dual_mov_b32 v91, v29 :: v_dual_mov_b32 v90, v81
	v_mad_nc_u64_u32 v[90:91], 0x4e441529, v28, v[90:91]
	s_delay_alu instid0(VALU_DEP_1) | instskip(NEXT) | instid1(VALU_DEP_1)
	v_mov_b32_e32 v94, v91
	v_mad_nc_u64_u32 v[94:95], 0xa2f9836e, v28, v[94:95]
	s_delay_alu instid0(VALU_DEP_1) | instskip(NEXT) | instid1(VALU_DEP_2)
	v_dual_cndmask_b32 v7, v90, v48, vcc_lo :: v_dual_cndmask_b32 v49, v95, v90, vcc_lo
	v_dual_cndmask_b32 v43, v94, v80 :: v_dual_cndmask_b32 v80, v80, v42
	s_delay_alu instid0(VALU_DEP_1) | instskip(NEXT) | instid1(VALU_DEP_2)
	v_cndmask_b32_e64 v6, v43, v7, s10
	v_dual_cndmask_b32 v43, v49, v43, s10 :: v_dual_cndmask_b32 v7, v7, v80, s10
	v_dual_cndmask_b32 v49, v80, v5, s10 :: v_dual_sub_nc_u32 v48, 32, v3
	s_delay_alu instid0(VALU_DEP_2) | instskip(NEXT) | instid1(VALU_DEP_2)
	v_dual_cndmask_b32 v43, v43, v6, s11 :: v_dual_cndmask_b32 v6, v6, v7, s11
	v_cndmask_b32_e64 v7, v7, v49, s11
	s_delay_alu instid0(VALU_DEP_2) | instskip(SKIP_2) | instid1(VALU_DEP_4)
	v_alignbit_b32 v80, v43, v6, v48
	v_cndmask_b32_e32 v4, v42, v4, vcc_lo
	v_cmp_eq_u32_e32 vcc_lo, 0, v3
	v_alignbit_b32 v42, v6, v7, v48
	s_delay_alu instid0(VALU_DEP_3) | instskip(NEXT) | instid1(VALU_DEP_2)
	v_dual_cndmask_b32 v3, v80, v43, vcc_lo :: v_dual_cndmask_b32 v4, v5, v4, s10
	v_cndmask_b32_e32 v5, v42, v6, vcc_lo
	s_delay_alu instid0(VALU_DEP_2) | instskip(NEXT) | instid1(VALU_DEP_3)
	v_bfe_u32 v6, v3, 29, 1
	v_cndmask_b32_e64 v4, v49, v4, s11
	s_delay_alu instid0(VALU_DEP_3) | instskip(NEXT) | instid1(VALU_DEP_3)
	v_alignbit_b32 v42, v3, v5, 30
	v_sub_nc_u32_e32 v43, 0, v6
	s_delay_alu instid0(VALU_DEP_3) | instskip(NEXT) | instid1(VALU_DEP_2)
	v_alignbit_b32 v48, v7, v4, v48
	v_xor_b32_e32 v42, v42, v43
	s_delay_alu instid0(VALU_DEP_2) | instskip(NEXT) | instid1(VALU_DEP_2)
	v_cndmask_b32_e32 v7, v48, v7, vcc_lo
	v_clz_i32_u32_e32 v48, v42
	s_delay_alu instid0(VALU_DEP_2) | instskip(SKIP_1) | instid1(VALU_DEP_3)
	v_alignbit_b32 v5, v5, v7, 30
	v_alignbit_b32 v4, v7, v4, 30
	v_min_u32_e32 v48, 32, v48
	s_delay_alu instid0(VALU_DEP_3) | instskip(NEXT) | instid1(VALU_DEP_2)
	v_xor_b32_e32 v5, v5, v43
	v_dual_sub_nc_u32 v7, 31, v48 :: v_dual_bitop2_b32 v4, v4, v43 bitop3:0x14
	v_lshlrev_b32_e32 v49, 23, v48
	s_delay_alu instid0(VALU_DEP_2) | instskip(SKIP_1) | instid1(VALU_DEP_4)
	v_alignbit_b32 v42, v42, v5, v7
	v_lshrrev_b32_e32 v43, 29, v3
	v_alignbit_b32 v4, v5, v4, v7
	v_lshrrev_b32_e32 v3, 30, v3
	s_delay_alu instid0(VALU_DEP_2) | instskip(NEXT) | instid1(VALU_DEP_4)
	v_alignbit_b32 v7, v42, v4, 9
	v_dual_lshrrev_b32 v42, 9, v42 :: v_dual_lshlrev_b32 v5, 31, v43
	s_delay_alu instid0(VALU_DEP_3) | instskip(NEXT) | instid1(VALU_DEP_3)
	v_add_nc_u32_e32 v91, v6, v3
	v_clz_i32_u32_e32 v80, v7
	s_delay_alu instid0(VALU_DEP_3) | instskip(SKIP_1) | instid1(VALU_DEP_2)
	v_or_b32_e32 v43, 0.5, v5
	v_or_b32_e32 v5, 0x33000000, v5
	v_sub_nc_u32_e32 v43, v43, v49
	s_delay_alu instid0(VALU_DEP_4) | instskip(NEXT) | instid1(VALU_DEP_1)
	v_min_u32_e32 v49, 32, v80
	v_add_lshl_u32 v48, v49, v48, 23
	s_delay_alu instid0(VALU_DEP_3) | instskip(SKIP_1) | instid1(VALU_DEP_2)
	v_or_b32_e32 v42, v42, v43
	v_not_b32_e32 v43, v49
	v_dual_mul_f32 v80, 0x3fc90fda, v42 :: v_dual_sub_nc_u32 v5, v5, v48
	s_delay_alu instid0(VALU_DEP_2) | instskip(NEXT) | instid1(VALU_DEP_2)
	v_alignbit_b32 v4, v7, v4, v43
	v_fma_f32 v7, 0x3fc90fda, v42, -v80
	s_delay_alu instid0(VALU_DEP_1) | instskip(NEXT) | instid1(VALU_DEP_1)
	v_dual_fmac_f32 v7, 0x33a22168, v42 :: v_dual_lshrrev_b32 v4, 9, v4
	v_or_b32_e32 v4, v5, v4
	s_delay_alu instid0(VALU_DEP_1) | instskip(NEXT) | instid1(VALU_DEP_1)
	v_fmac_f32_e32 v7, 0x3fc90fda, v4
	v_add_f32_e32 v90, v80, v7
	s_and_not1_saveexec_b32 s10, s21
	s_branch .LBB2_71
.LBB2_70:                               ;   in Loop: Header=BB2_34 Depth=2
	s_and_not1_saveexec_b32 s10, s21
.LBB2_71:                               ;   in Loop: Header=BB2_34 Depth=2
	v_fma_f32 v90, 0xbfc90fda, v2, |v82|
	v_cvt_i32_f32_e32 v91, v2
	s_delay_alu instid0(VALU_DEP_2) | instskip(NEXT) | instid1(VALU_DEP_1)
	v_fmac_f32_e32 v90, 0xb3a22168, v2
	v_fmac_f32_e32 v90, 0xa7c234c4, v2
; %bb.72:                               ;   in Loop: Header=BB2_34 Depth=2
	s_or_b32 exec_lo, exec_lo, s10
                                        ; implicit-def: $vgpr42
                                        ; implicit-def: $vgpr7
	s_and_saveexec_b32 s10, s12
	s_delay_alu instid0(SALU_CYCLE_1)
	s_xor_b32 s21, exec_lo, s10
	s_cbranch_execz .LBB2_74
; %bb.73:                               ;   in Loop: Header=BB2_34 Depth=2
	v_mul_u64_e32 v[4:5], s[34:35], v[28:29]
	v_mov_b32_e32 v7, v29
	v_cmp_lt_u32_e32 vcc_lo, 63, v92
	v_mov_b32_e32 v97, v29
	v_cndmask_b32_e64 v3, 0, 0xffffffc0, vcc_lo
	s_delay_alu instid0(VALU_DEP_1) | instskip(NEXT) | instid1(VALU_DEP_1)
	v_add_nc_u32_e32 v3, v3, v92
	v_cmp_lt_u32_e64 s10, 31, v3
	v_mov_b32_e32 v6, v5
	s_delay_alu instid0(VALU_DEP_2) | instskip(NEXT) | instid1(VALU_DEP_2)
	v_cndmask_b32_e64 v5, 0, 0xffffffe0, s10
	v_mad_nc_u64_u32 v[6:7], 0x3c439041, v28, v[6:7]
	v_mov_b32_e32 v43, v29
	s_delay_alu instid0(VALU_DEP_3) | instskip(NEXT) | instid1(VALU_DEP_1)
	v_add_nc_u32_e32 v3, v5, v3
	v_cmp_lt_u32_e64 s11, 31, v3
	s_delay_alu instid0(VALU_DEP_4) | instskip(NEXT) | instid1(VALU_DEP_2)
	v_mov_b32_e32 v42, v7
	v_cndmask_b32_e64 v5, 0, 0xffffffe0, s11
	s_delay_alu instid0(VALU_DEP_2) | instskip(SKIP_1) | instid1(VALU_DEP_2)
	v_mad_nc_u64_u32 v[42:43], 0xdb629599, v28, v[42:43]
	v_mov_b32_e32 v49, v29
	v_dual_mov_b32 v48, v43 :: v_dual_add_nc_u32 v3, v5, v3
	s_delay_alu instid0(VALU_DEP_1) | instskip(NEXT) | instid1(VALU_DEP_1)
	v_mad_nc_u64_u32 v[48:49], 0xf534ddc0, v28, v[48:49]
	v_dual_mov_b32 v81, v29 :: v_dual_mov_b32 v80, v49
	s_delay_alu instid0(VALU_DEP_1) | instskip(NEXT) | instid1(VALU_DEP_1)
	v_mad_nc_u64_u32 v[80:81], 0xfc2757d1, v28, v[80:81]
	v_dual_mov_b32 v95, v29 :: v_dual_mov_b32 v94, v81
	s_delay_alu instid0(VALU_DEP_1) | instskip(NEXT) | instid1(VALU_DEP_1)
	v_mad_nc_u64_u32 v[94:95], 0x4e441529, v28, v[94:95]
	v_mov_b32_e32 v96, v95
	s_delay_alu instid0(VALU_DEP_1) | instskip(NEXT) | instid1(VALU_DEP_1)
	v_mad_nc_u64_u32 v[96:97], 0xa2f9836e, v28, v[96:97]
	v_dual_cndmask_b32 v7, v94, v48, vcc_lo :: v_dual_cndmask_b32 v49, v97, v94, vcc_lo
	s_delay_alu instid0(VALU_DEP_2) | instskip(SKIP_2) | instid1(VALU_DEP_3)
	v_cndmask_b32_e32 v43, v96, v80, vcc_lo
	v_cndmask_b32_e32 v80, v80, v42, vcc_lo
	v_dual_cndmask_b32 v5, v48, v6 :: v_dual_sub_nc_u32 v48, 32, v3
	v_cndmask_b32_e64 v6, v43, v7, s10
	s_delay_alu instid0(VALU_DEP_3) | instskip(NEXT) | instid1(VALU_DEP_1)
	v_dual_cndmask_b32 v43, v49, v43, s10 :: v_dual_cndmask_b32 v7, v7, v80, s10
	v_dual_cndmask_b32 v49, v80, v5, s10 :: v_dual_cndmask_b32 v43, v43, v6, s11
	s_delay_alu instid0(VALU_DEP_1) | instskip(NEXT) | instid1(VALU_DEP_1)
	v_dual_cndmask_b32 v6, v6, v7, s11 :: v_dual_cndmask_b32 v7, v7, v49, s11
	v_alignbit_b32 v80, v43, v6, v48
	v_cndmask_b32_e32 v4, v42, v4, vcc_lo
	v_cmp_eq_u32_e32 vcc_lo, 0, v3
	s_delay_alu instid0(VALU_DEP_4) | instskip(NEXT) | instid1(VALU_DEP_3)
	v_alignbit_b32 v42, v6, v7, v48
	v_dual_cndmask_b32 v3, v80, v43, vcc_lo :: v_dual_cndmask_b32 v4, v5, v4, s10
	s_delay_alu instid0(VALU_DEP_2) | instskip(NEXT) | instid1(VALU_DEP_2)
	v_cndmask_b32_e32 v5, v42, v6, vcc_lo
	v_bfe_u32 v6, v3, 29, 1
	s_delay_alu instid0(VALU_DEP_3) | instskip(NEXT) | instid1(VALU_DEP_3)
	v_cndmask_b32_e64 v4, v49, v4, s11
	v_alignbit_b32 v42, v3, v5, 30
	s_delay_alu instid0(VALU_DEP_3) | instskip(NEXT) | instid1(VALU_DEP_3)
	v_sub_nc_u32_e32 v43, 0, v6
	v_alignbit_b32 v48, v7, v4, v48
	s_delay_alu instid0(VALU_DEP_2) | instskip(NEXT) | instid1(VALU_DEP_2)
	v_xor_b32_e32 v42, v42, v43
	v_cndmask_b32_e32 v7, v48, v7, vcc_lo
	s_delay_alu instid0(VALU_DEP_2) | instskip(NEXT) | instid1(VALU_DEP_2)
	v_clz_i32_u32_e32 v48, v42
	v_alignbit_b32 v5, v5, v7, 30
	v_alignbit_b32 v4, v7, v4, 30
	s_delay_alu instid0(VALU_DEP_3) | instskip(NEXT) | instid1(VALU_DEP_3)
	v_min_u32_e32 v48, 32, v48
	v_xor_b32_e32 v5, v5, v43
	s_delay_alu instid0(VALU_DEP_2) | instskip(SKIP_1) | instid1(VALU_DEP_2)
	v_dual_sub_nc_u32 v7, 31, v48 :: v_dual_bitop2_b32 v4, v4, v43 bitop3:0x14
	v_lshlrev_b32_e32 v49, 23, v48
	v_alignbit_b32 v42, v42, v5, v7
	v_lshrrev_b32_e32 v43, 29, v3
	s_delay_alu instid0(VALU_DEP_4) | instskip(SKIP_1) | instid1(VALU_DEP_2)
	v_alignbit_b32 v4, v5, v4, v7
	v_lshrrev_b32_e32 v3, 30, v3
	v_alignbit_b32 v7, v42, v4, 9
	s_delay_alu instid0(VALU_DEP_4) | instskip(NEXT) | instid1(VALU_DEP_2)
	v_dual_lshrrev_b32 v42, 9, v42 :: v_dual_lshlrev_b32 v5, 31, v43
	v_clz_i32_u32_e32 v80, v7
	s_delay_alu instid0(VALU_DEP_2) | instskip(SKIP_1) | instid1(VALU_DEP_2)
	v_or_b32_e32 v43, 0.5, v5
	v_or_b32_e32 v5, 0x33000000, v5
	v_sub_nc_u32_e32 v43, v43, v49
	s_delay_alu instid0(VALU_DEP_4) | instskip(NEXT) | instid1(VALU_DEP_1)
	v_min_u32_e32 v49, 32, v80
	v_add_lshl_u32 v48, v49, v48, 23
	s_delay_alu instid0(VALU_DEP_3) | instskip(SKIP_1) | instid1(VALU_DEP_2)
	v_or_b32_e32 v42, v42, v43
	v_not_b32_e32 v43, v49
	v_dual_mul_f32 v80, 0x3fc90fda, v42 :: v_dual_sub_nc_u32 v5, v5, v48
	s_delay_alu instid0(VALU_DEP_2) | instskip(NEXT) | instid1(VALU_DEP_2)
	v_alignbit_b32 v4, v7, v4, v43
	v_fma_f32 v7, 0x3fc90fda, v42, -v80
	s_delay_alu instid0(VALU_DEP_1) | instskip(NEXT) | instid1(VALU_DEP_1)
	v_dual_fmac_f32 v7, 0x33a22168, v42 :: v_dual_lshrrev_b32 v4, 9, v4
	v_dual_add_nc_u32 v42, v6, v3 :: v_dual_bitop2_b32 v4, v5, v4 bitop3:0x54
	s_delay_alu instid0(VALU_DEP_1) | instskip(NEXT) | instid1(VALU_DEP_1)
	v_fmac_f32_e32 v7, 0x3fc90fda, v4
	v_add_f32_e32 v7, v80, v7
	s_and_not1_saveexec_b32 s10, s21
	s_branch .LBB2_75
.LBB2_74:                               ;   in Loop: Header=BB2_34 Depth=2
	s_and_not1_saveexec_b32 s10, s21
.LBB2_75:                               ;   in Loop: Header=BB2_34 Depth=2
	v_fma_f32 v7, 0xbfc90fda, v2, |v82|
	v_cvt_i32_f32_e32 v42, v2
	s_delay_alu instid0(VALU_DEP_2) | instskip(NEXT) | instid1(VALU_DEP_1)
	v_fmac_f32_e32 v7, 0xb3a22168, v2
	v_fmac_f32_e32 v7, 0xa7c234c4, v2
; %bb.76:                               ;   in Loop: Header=BB2_34 Depth=2
	s_or_b32 exec_lo, exec_lo, s10
                                        ; implicit-def: $vgpr3
                                        ; implicit-def: $vgpr6
	s_and_saveexec_b32 s10, s12
	s_delay_alu instid0(SALU_CYCLE_1)
	s_xor_b32 s21, exec_lo, s10
	s_cbranch_execz .LBB2_78
; %bb.77:                               ;   in Loop: Header=BB2_34 Depth=2
	v_mul_u64_e32 v[80:81], s[34:35], v[28:29]
	v_mov_b32_e32 v3, v29
	v_cmp_lt_u32_e32 vcc_lo, 63, v92
	s_delay_alu instid0(VALU_DEP_3) | instskip(NEXT) | instid1(VALU_DEP_1)
	v_mov_b32_e32 v2, v81
	v_mad_nc_u64_u32 v[2:3], 0x3c439041, v28, v[2:3]
	s_delay_alu instid0(VALU_DEP_1) | instskip(SKIP_1) | instid1(VALU_DEP_2)
	v_dual_mov_b32 v5, v29 :: v_dual_mov_b32 v4, v3
	v_cndmask_b32_e64 v3, 0, 0xffffffc0, vcc_lo
	v_mad_nc_u64_u32 v[4:5], 0xdb629599, v28, v[4:5]
	s_delay_alu instid0(VALU_DEP_2) | instskip(NEXT) | instid1(VALU_DEP_2)
	v_dual_mov_b32 v49, v29 :: v_dual_add_nc_u32 v3, v3, v92
	v_mov_b32_e32 v48, v5
	s_delay_alu instid0(VALU_DEP_1) | instskip(NEXT) | instid1(VALU_DEP_1)
	v_mad_nc_u64_u32 v[48:49], 0xf534ddc0, v28, v[48:49]
	v_dual_mov_b32 v95, v29 :: v_dual_mov_b32 v94, v49
	s_delay_alu instid0(VALU_DEP_1) | instskip(NEXT) | instid1(VALU_DEP_1)
	v_mad_nc_u64_u32 v[94:95], 0xfc2757d1, v28, v[94:95]
	v_dual_mov_b32 v97, v29 :: v_dual_mov_b32 v96, v95
	s_delay_alu instid0(VALU_DEP_1) | instskip(NEXT) | instid1(VALU_DEP_1)
	v_mad_nc_u64_u32 v[92:93], 0x4e441529, v28, v[96:97]
	v_mov_b32_e32 v96, v93
	v_cmp_lt_u32_e64 s10, 31, v3
	s_delay_alu instid0(VALU_DEP_3) | instskip(NEXT) | instid1(VALU_DEP_3)
	v_cndmask_b32_e32 v6, v92, v48, vcc_lo
	v_mad_nc_u64_u32 v[96:97], 0xa2f9836e, v28, v[96:97]
	s_delay_alu instid0(VALU_DEP_3) | instskip(NEXT) | instid1(VALU_DEP_1)
	v_cndmask_b32_e64 v5, 0, 0xffffffe0, s10
	v_add_nc_u32_e32 v3, v5, v3
	s_delay_alu instid0(VALU_DEP_1) | instskip(NEXT) | instid1(VALU_DEP_4)
	v_cmp_lt_u32_e64 s11, 31, v3
	v_dual_cndmask_b32 v28, v96, v94 :: v_dual_cndmask_b32 v43, v97, v92
	v_cndmask_b32_e32 v2, v48, v2, vcc_lo
	s_delay_alu instid0(VALU_DEP_3) | instskip(SKIP_1) | instid1(VALU_DEP_2)
	v_cndmask_b32_e64 v5, 0, 0xffffffe0, s11
	v_cndmask_b32_e32 v49, v94, v4, vcc_lo
	v_dual_cndmask_b32 v4, v4, v80 :: v_dual_add_nc_u32 v3, v5, v3
	s_delay_alu instid0(VALU_DEP_2) | instskip(SKIP_1) | instid1(VALU_DEP_3)
	v_dual_cndmask_b32 v5, v28, v6, s10 :: v_dual_cndmask_b32 v6, v6, v49, s10
	v_dual_cndmask_b32 v28, v43, v28, s10 :: v_dual_cndmask_b32 v48, v49, v2, s10
	v_sub_nc_u32_e32 v43, 32, v3
	v_cmp_eq_u32_e64 s12, 0, v3
	s_delay_alu instid0(VALU_DEP_3) | instskip(NEXT) | instid1(VALU_DEP_4)
	v_dual_cndmask_b32 v28, v28, v5, s11 :: v_dual_cndmask_b32 v5, v5, v6, s11
	v_cndmask_b32_e64 v3, v6, v48, s11
	v_cndmask_b32_e64 v2, v2, v4, s10
	s_delay_alu instid0(VALU_DEP_3) | instskip(NEXT) | instid1(VALU_DEP_3)
	v_alignbit_b32 v6, v28, v5, v43
	v_alignbit_b32 v49, v5, v3, v43
	s_delay_alu instid0(VALU_DEP_2) | instskip(NEXT) | instid1(VALU_DEP_2)
	v_dual_cndmask_b32 v2, v48, v2, s11 :: v_dual_cndmask_b32 v6, v6, v28, s12
	v_cndmask_b32_e64 v4, v49, v5, s12
	s_delay_alu instid0(VALU_DEP_2) | instskip(NEXT) | instid1(VALU_DEP_3)
	v_alignbit_b32 v43, v3, v2, v43
	v_bfe_u32 v5, v6, 29, 1
	s_delay_alu instid0(VALU_DEP_3) | instskip(NEXT) | instid1(VALU_DEP_2)
	v_alignbit_b32 v28, v6, v4, 30
	v_dual_cndmask_b32 v3, v43, v3, s12 :: v_dual_sub_nc_u32 v48, 0, v5
	s_delay_alu instid0(VALU_DEP_1) | instskip(SKIP_1) | instid1(VALU_DEP_3)
	v_alignbit_b32 v4, v4, v3, 30
	v_alignbit_b32 v2, v3, v2, 30
	v_xor_b32_e32 v28, v28, v48
	s_delay_alu instid0(VALU_DEP_3) | instskip(NEXT) | instid1(VALU_DEP_3)
	v_xor_b32_e32 v3, v4, v48
	v_dual_lshrrev_b32 v48, 29, v6 :: v_dual_bitop2_b32 v2, v2, v48 bitop3:0x14
	s_delay_alu instid0(VALU_DEP_3) | instskip(NEXT) | instid1(VALU_DEP_1)
	v_clz_i32_u32_e32 v43, v28
	v_min_u32_e32 v43, 32, v43
	s_delay_alu instid0(VALU_DEP_1) | instskip(NEXT) | instid1(VALU_DEP_1)
	v_sub_nc_u32_e32 v4, 31, v43
	v_alignbit_b32 v28, v28, v3, v4
	v_alignbit_b32 v2, v3, v2, v4
	v_lshlrev_b32_e32 v3, 31, v48
	s_delay_alu instid0(VALU_DEP_2) | instskip(NEXT) | instid1(VALU_DEP_2)
	v_alignbit_b32 v4, v28, v2, 9
	v_dual_lshrrev_b32 v28, 9, v28 :: v_dual_bitop2_b32 v48, 0.5, v3 bitop3:0x54
	v_lshlrev_b32_e32 v49, 23, v43
	v_or_b32_e32 v3, 0x33000000, v3
	s_delay_alu instid0(VALU_DEP_4) | instskip(NEXT) | instid1(VALU_DEP_3)
	v_clz_i32_u32_e32 v80, v4
	v_sub_nc_u32_e32 v48, v48, v49
	s_delay_alu instid0(VALU_DEP_2) | instskip(NEXT) | instid1(VALU_DEP_1)
	v_min_u32_e32 v49, 32, v80
	v_add_lshl_u32 v43, v49, v43, 23
	s_delay_alu instid0(VALU_DEP_1) | instskip(SKIP_1) | instid1(VALU_DEP_2)
	v_dual_sub_nc_u32 v3, v3, v43 :: v_dual_bitop2_b32 v28, v28, v48 bitop3:0x54
	v_not_b32_e32 v48, v49
	v_mul_f32_e32 v80, 0x3fc90fda, v28
	s_delay_alu instid0(VALU_DEP_2) | instskip(NEXT) | instid1(VALU_DEP_2)
	v_alignbit_b32 v2, v4, v2, v48
	v_fma_f32 v4, 0x3fc90fda, v28, -v80
	s_delay_alu instid0(VALU_DEP_2) | instskip(NEXT) | instid1(VALU_DEP_2)
	v_lshrrev_b32_e32 v2, 9, v2
	v_fmac_f32_e32 v4, 0x33a22168, v28
	s_delay_alu instid0(VALU_DEP_2) | instskip(NEXT) | instid1(VALU_DEP_1)
	v_or_b32_e32 v2, v3, v2
	v_fmac_f32_e32 v4, 0x3fc90fda, v2
	v_lshrrev_b32_e32 v2, 30, v6
	s_delay_alu instid0(VALU_DEP_1)
	v_dual_add_f32 v6, v80, v4 :: v_dual_add_nc_u32 v3, v5, v2
                                        ; implicit-def: $vgpr2
	s_and_not1_saveexec_b32 s10, s21
	s_cbranch_execnz .LBB2_79
	s_branch .LBB2_80
.LBB2_78:                               ;   in Loop: Header=BB2_34 Depth=2
	s_and_not1_saveexec_b32 s10, s21
.LBB2_79:                               ;   in Loop: Header=BB2_34 Depth=2
	v_fma_f32 v6, 0xbfc90fda, v2, |v82|
	v_cvt_i32_f32_e32 v3, v2
	s_delay_alu instid0(VALU_DEP_2) | instskip(NEXT) | instid1(VALU_DEP_1)
	v_fmac_f32_e32 v6, 0xb3a22168, v2
	v_fmac_f32_e32 v6, 0xa7c234c4, v2
.LBB2_80:                               ;   in Loop: Header=BB2_34 Depth=2
	s_or_b32 exec_lo, exec_lo, s10
	v_mul_f32_e32 v2, v7, v7
	s_delay_alu instid0(VALU_DEP_1) | instskip(NEXT) | instid1(VALU_DEP_1)
	v_fmaak_f32 v4, s54, v2, 0x3c0881c4
	v_fmaak_f32 v4, v2, v4, 0xbe2aaa9d
	s_delay_alu instid0(VALU_DEP_1) | instskip(NEXT) | instid1(VALU_DEP_1)
	v_mul_f32_e32 v4, v2, v4
	v_dual_fmac_f32 v7, v7, v4 :: v_dual_fmaak_f32 v4, s56, v2, 0xbab64f3b
	s_delay_alu instid0(VALU_DEP_1) | instskip(NEXT) | instid1(VALU_DEP_1)
	v_fmaak_f32 v4, v2, v4, 0x3d2aabf7
	v_fmaak_f32 v4, v2, v4, 0xbf000004
	s_delay_alu instid0(VALU_DEP_1) | instskip(SKIP_1) | instid1(VALU_DEP_1)
	v_fma_f32 v2, v2, v4, 1.0
	v_and_b32_e32 v4, 1, v42
	v_cmp_eq_u32_e32 vcc_lo, 0, v4
	v_lshlrev_b32_e32 v4, 30, v42
	s_delay_alu instid0(VALU_DEP_4) | instskip(NEXT) | instid1(VALU_DEP_1)
	v_cndmask_b32_e64 v2, -v7, v2, vcc_lo
	v_bitop3_b32 v2, v4, v2, 0x80000000 bitop3:0x6c
	v_mul_f32_e32 v4, v88, v88
	s_delay_alu instid0(VALU_DEP_1) | instskip(NEXT) | instid1(VALU_DEP_1)
	v_fmaak_f32 v5, s54, v4, 0x3c0881c4
	v_fmaak_f32 v5, v4, v5, 0xbe2aaa9d
	s_delay_alu instid0(VALU_DEP_1) | instskip(NEXT) | instid1(VALU_DEP_1)
	v_mul_f32_e32 v5, v4, v5
	v_dual_fmac_f32 v88, v88, v5 :: v_dual_fmaak_f32 v5, s56, v4, 0xbab64f3b
	s_delay_alu instid0(VALU_DEP_1) | instskip(NEXT) | instid1(VALU_DEP_1)
	v_fmaak_f32 v5, v4, v5, 0x3d2aabf7
	v_fmaak_f32 v5, v4, v5, 0xbf000004
	s_delay_alu instid0(VALU_DEP_1) | instskip(SKIP_1) | instid1(VALU_DEP_1)
	v_fma_f32 v4, v4, v5, 1.0
	v_and_b32_e32 v5, 1, v89
	v_cmp_eq_u32_e32 vcc_lo, 0, v5
	s_delay_alu instid0(VALU_DEP_3) | instskip(SKIP_1) | instid1(VALU_DEP_2)
	v_dual_lshlrev_b32 v5, 30, v89 :: v_dual_cndmask_b32 v4, -v88, v4, vcc_lo
	v_cmp_class_f32_e64 vcc_lo, v82, 0x1f8
	v_bitop3_b32 v4, v5, v4, 0x80000000 bitop3:0x6c
	v_mul_f32_e32 v5, v90, v90
	s_delay_alu instid0(VALU_DEP_1) | instskip(NEXT) | instid1(VALU_DEP_1)
	v_fmaak_f32 v7, s54, v5, 0x3c0881c4
	v_fmaak_f32 v7, v5, v7, 0xbe2aaa9d
	s_delay_alu instid0(VALU_DEP_1) | instskip(NEXT) | instid1(VALU_DEP_1)
	v_mul_f32_e32 v7, v5, v7
	v_dual_fmac_f32 v90, v90, v7 :: v_dual_fmaak_f32 v7, s56, v5, 0xbab64f3b
	s_delay_alu instid0(VALU_DEP_1) | instskip(NEXT) | instid1(VALU_DEP_1)
	v_fmaak_f32 v7, v5, v7, 0x3d2aabf7
	v_fmaak_f32 v7, v5, v7, 0xbf000004
	s_delay_alu instid0(VALU_DEP_1) | instskip(SKIP_1) | instid1(VALU_DEP_1)
	v_fma_f32 v5, v5, v7, 1.0
	v_and_b32_e32 v7, 1, v91
	v_cmp_eq_u32_e64 s10, 0, v7
	s_delay_alu instid0(VALU_DEP_1) | instskip(NEXT) | instid1(VALU_DEP_1)
	v_dual_lshlrev_b32 v7, 30, v91 :: v_dual_cndmask_b32 v5, v5, v90, s10
	v_bitop3_b32 v7, v83, v7, 0x80000000 bitop3:0x78
	s_delay_alu instid0(VALU_DEP_1) | instskip(NEXT) | instid1(VALU_DEP_1)
	v_xor3_b32 v5, v7, v5, v82
	v_add_f32_e32 v4, v4, v5
	s_delay_alu instid0(VALU_DEP_1) | instskip(NEXT) | instid1(VALU_DEP_1)
	v_cndmask_b32_e32 v4, 0x7fc00000, v4, vcc_lo
	v_mul_f32_e32 v80, v38, v4
	v_mul_f32_e32 v4, v6, v6
	s_delay_alu instid0(VALU_DEP_1) | instskip(NEXT) | instid1(VALU_DEP_1)
	v_fmaak_f32 v5, s54, v4, 0x3c0881c4
	v_fmaak_f32 v5, v4, v5, 0xbe2aaa9d
	s_delay_alu instid0(VALU_DEP_1) | instskip(NEXT) | instid1(VALU_DEP_1)
	v_mul_f32_e32 v5, v4, v5
	v_dual_fmac_f32 v6, v6, v5 :: v_dual_fmaak_f32 v5, s56, v4, 0xbab64f3b
	s_delay_alu instid0(VALU_DEP_1) | instskip(NEXT) | instid1(VALU_DEP_1)
	v_fmaak_f32 v5, v4, v5, 0x3d2aabf7
	v_fmaak_f32 v5, v4, v5, 0xbf000004
	s_delay_alu instid0(VALU_DEP_1) | instskip(SKIP_1) | instid1(VALU_DEP_1)
	v_fma_f32 v4, v4, v5, 1.0
	v_dual_lshlrev_b32 v3, 30, v3 :: v_dual_bitop2_b32 v5, 1, v3 bitop3:0x40
	v_cmp_eq_u32_e64 s10, 0, v5
	s_delay_alu instid0(VALU_DEP_2) | instskip(NEXT) | instid1(VALU_DEP_2)
	v_bitop3_b32 v3, v83, v3, 0x80000000 bitop3:0x78
	v_cndmask_b32_e64 v4, v4, v6, s10
	s_delay_alu instid0(VALU_DEP_1) | instskip(NEXT) | instid1(VALU_DEP_1)
	v_xor3_b32 v3, v3, v4, v82
	v_sub_f32_e32 v2, v2, v3
	s_delay_alu instid0(VALU_DEP_1) | instskip(NEXT) | instid1(VALU_DEP_1)
	v_cndmask_b32_e32 v2, 0x7fc00000, v2, vcc_lo
	v_mul_f32_e32 v81, v38, v2
.LBB2_81:                               ;   in Loop: Header=BB2_34 Depth=2
	s_and_not1_saveexec_b32 s18, s18
	s_cbranch_execz .LBB2_87
; %bb.82:                               ;   in Loop: Header=BB2_34 Depth=2
	global_load_b32 v2, v[24:25], off
                                        ; implicit-def: $vgpr6
                                        ; implicit-def: $vgpr4
	s_mov_b32 s11, exec_lo
	s_wait_loadcnt 0x0
	v_mul_f32_e32 v2, 0x40490fdb, v2
	s_delay_alu instid0(VALU_DEP_1) | instskip(NEXT) | instid1(VALU_DEP_1)
	v_mul_f32_e32 v2, v14, v2
	v_and_b32_e32 v3, 0x7fffffff, v2
	s_wait_xcnt 0x0
	v_cmpx_ngt_f32_e64 0x48000000, |v2|
	s_xor_b32 s21, exec_lo, s11
	s_cbranch_execz .LBB2_84
; %bb.83:                               ;   in Loop: Header=BB2_34 Depth=2
	v_and_or_b32 v28, v3, s49, 0x800000
	s_delay_alu instid0(VALU_DEP_1) | instskip(NEXT) | instid1(VALU_DEP_1)
	v_mul_u64_e32 v[80:81], s[34:35], v[28:29]
	v_dual_mov_b32 v5, v29 :: v_dual_mov_b32 v4, v81
	s_delay_alu instid0(VALU_DEP_1) | instskip(NEXT) | instid1(VALU_DEP_1)
	v_mad_nc_u64_u32 v[4:5], 0x3c439041, v28, v[4:5]
	v_dual_mov_b32 v7, v29 :: v_dual_mov_b32 v6, v5
	v_lshrrev_b32_e32 v5, 23, v3
	s_delay_alu instid0(VALU_DEP_2) | instskip(NEXT) | instid1(VALU_DEP_1)
	v_mad_nc_u64_u32 v[82:83], 0xdb629599, v28, v[6:7]
	v_mov_b32_e32 v6, v83
	s_delay_alu instid0(VALU_DEP_1) | instskip(NEXT) | instid1(VALU_DEP_1)
	v_mad_nc_u64_u32 v[6:7], 0xf534ddc0, v28, v[6:7]
	v_dual_mov_b32 v43, v29 :: v_dual_mov_b32 v42, v7
	s_delay_alu instid0(VALU_DEP_1) | instskip(NEXT) | instid1(VALU_DEP_1)
	v_mad_nc_u64_u32 v[42:43], 0xfc2757d1, v28, v[42:43]
	v_dual_mov_b32 v48, v43 :: v_dual_add_nc_u32 v5, 0xffffff88, v5
	s_delay_alu instid0(VALU_DEP_1) | instskip(SKIP_1) | instid1(VALU_DEP_1)
	v_cmp_lt_u32_e32 vcc_lo, 63, v5
	v_cndmask_b32_e64 v7, 0, 0xffffffc0, vcc_lo
	v_dual_mov_b32 v49, v29 :: v_dual_add_nc_u32 v5, v7, v5
	s_delay_alu instid0(VALU_DEP_1) | instskip(SKIP_1) | instid1(VALU_DEP_3)
	v_mad_nc_u64_u32 v[48:49], 0x4e441529, v28, v[48:49]
	v_mov_b32_e32 v89, v29
	v_cmp_lt_u32_e64 s10, 31, v5
	s_delay_alu instid0(VALU_DEP_1) | instskip(NEXT) | instid1(VALU_DEP_1)
	v_cndmask_b32_e64 v7, 0, 0xffffffe0, s10
	v_dual_mov_b32 v88, v49 :: v_dual_add_nc_u32 v5, v7, v5
	s_delay_alu instid0(VALU_DEP_1) | instskip(SKIP_1) | instid1(VALU_DEP_3)
	v_mad_nc_u64_u32 v[88:89], 0xa2f9836e, v28, v[88:89]
	v_cndmask_b32_e32 v28, v48, v6, vcc_lo
	v_cmp_lt_u32_e64 s11, 31, v5
	s_delay_alu instid0(VALU_DEP_1) | instskip(NEXT) | instid1(VALU_DEP_4)
	v_cndmask_b32_e64 v7, 0, 0xffffffe0, s11
	v_dual_cndmask_b32 v43, v88, v42 :: v_dual_cndmask_b32 v48, v89, v48
	s_delay_alu instid0(VALU_DEP_2) | instskip(SKIP_1) | instid1(VALU_DEP_3)
	v_dual_cndmask_b32 v42, v42, v82 :: v_dual_add_nc_u32 v5, v7, v5
	v_cndmask_b32_e32 v4, v6, v4, vcc_lo
	v_dual_cndmask_b32 v6, v43, v28, s10 :: v_dual_cndmask_b32 v7, v48, v43, s10
	s_delay_alu instid0(VALU_DEP_3) | instskip(NEXT) | instid1(VALU_DEP_3)
	v_dual_cndmask_b32 v28, v28, v42, s10 :: v_dual_sub_nc_u32 v43, 32, v5
	v_cndmask_b32_e64 v42, v42, v4, s10
	v_cmp_eq_u32_e64 s12, 0, v5
	s_delay_alu instid0(VALU_DEP_3) | instskip(NEXT) | instid1(VALU_DEP_3)
	v_dual_cndmask_b32 v7, v7, v6, s11 :: v_dual_cndmask_b32 v6, v6, v28, s11
	v_dual_cndmask_b32 v48, v82, v80, vcc_lo :: v_dual_cndmask_b32 v5, v28, v42, s11
	s_delay_alu instid0(VALU_DEP_2) | instskip(NEXT) | instid1(VALU_DEP_2)
	v_alignbit_b32 v28, v7, v6, v43
	v_cndmask_b32_e64 v4, v4, v48, s10
	s_delay_alu instid0(VALU_DEP_3) | instskip(NEXT) | instid1(VALU_DEP_2)
	v_alignbit_b32 v49, v6, v5, v43
	v_dual_cndmask_b32 v7, v28, v7, s12 :: v_dual_cndmask_b32 v4, v42, v4, s11
	s_delay_alu instid0(VALU_DEP_2) | instskip(NEXT) | instid1(VALU_DEP_2)
	v_cndmask_b32_e64 v6, v49, v6, s12
	v_bfe_u32 v28, v7, 29, 1
	s_delay_alu instid0(VALU_DEP_3) | instskip(NEXT) | instid1(VALU_DEP_3)
	v_alignbit_b32 v43, v5, v4, v43
	v_alignbit_b32 v42, v7, v6, 30
	s_delay_alu instid0(VALU_DEP_2) | instskip(NEXT) | instid1(VALU_DEP_1)
	v_dual_sub_nc_u32 v48, 0, v28 :: v_dual_cndmask_b32 v5, v43, v5, s12
	v_xor_b32_e32 v42, v42, v48
	s_delay_alu instid0(VALU_DEP_2) | instskip(SKIP_1) | instid1(VALU_DEP_3)
	v_alignbit_b32 v6, v6, v5, 30
	v_alignbit_b32 v4, v5, v4, 30
	v_clz_i32_u32_e32 v43, v42
	s_delay_alu instid0(VALU_DEP_3) | instskip(NEXT) | instid1(VALU_DEP_2)
	v_xor_b32_e32 v5, v6, v48
	v_min_u32_e32 v43, 32, v43
	s_delay_alu instid0(VALU_DEP_1) | instskip(SKIP_2) | instid1(VALU_DEP_3)
	v_dual_sub_nc_u32 v6, 31, v43 :: v_dual_bitop2_b32 v4, v4, v48 bitop3:0x14
	v_lshrrev_b32_e32 v48, 29, v7
	v_lshlrev_b32_e32 v49, 23, v43
	v_alignbit_b32 v42, v42, v5, v6
	s_delay_alu instid0(VALU_DEP_4) | instskip(NEXT) | instid1(VALU_DEP_4)
	v_alignbit_b32 v4, v5, v4, v6
	v_lshlrev_b32_e32 v5, 31, v48
	s_delay_alu instid0(VALU_DEP_2) | instskip(NEXT) | instid1(VALU_DEP_2)
	v_alignbit_b32 v6, v42, v4, 9
	v_dual_lshrrev_b32 v42, 9, v42 :: v_dual_bitop2_b32 v48, 0.5, v5 bitop3:0x54
	v_or_b32_e32 v5, 0x33000000, v5
	s_delay_alu instid0(VALU_DEP_3) | instskip(NEXT) | instid1(VALU_DEP_3)
	v_clz_i32_u32_e32 v80, v6
	v_sub_nc_u32_e32 v48, v48, v49
	s_delay_alu instid0(VALU_DEP_2) | instskip(NEXT) | instid1(VALU_DEP_1)
	v_min_u32_e32 v49, 32, v80
	v_add_lshl_u32 v43, v49, v43, 23
	s_delay_alu instid0(VALU_DEP_3) | instskip(SKIP_1) | instid1(VALU_DEP_2)
	v_or_b32_e32 v42, v42, v48
	v_not_b32_e32 v48, v49
	v_dual_mul_f32 v80, 0x3fc90fda, v42 :: v_dual_sub_nc_u32 v5, v5, v43
	s_delay_alu instid0(VALU_DEP_2) | instskip(NEXT) | instid1(VALU_DEP_1)
	v_alignbit_b32 v4, v6, v4, v48
	v_lshrrev_b32_e32 v4, 9, v4
	s_delay_alu instid0(VALU_DEP_1) | instskip(NEXT) | instid1(VALU_DEP_4)
	v_dual_lshrrev_b32 v5, 30, v7 :: v_dual_bitop2_b32 v4, v5, v4 bitop3:0x54
	v_fma_f32 v6, 0x3fc90fda, v42, -v80
	s_delay_alu instid0(VALU_DEP_1) | instskip(NEXT) | instid1(VALU_DEP_1)
	v_fmac_f32_e32 v6, 0x33a22168, v42
	v_fmac_f32_e32 v6, 0x3fc90fda, v4
	s_delay_alu instid0(VALU_DEP_1)
	v_add_f32_e32 v4, v80, v6
	v_add_nc_u32_e32 v6, v28, v5
.LBB2_84:                               ;   in Loop: Header=BB2_34 Depth=2
	s_and_not1_saveexec_b32 s10, s21
; %bb.85:                               ;   in Loop: Header=BB2_34 Depth=2
	v_mul_f32_e64 v4, 0x3f22f983, |v2|
	s_delay_alu instid0(VALU_DEP_1) | instskip(NEXT) | instid1(VALU_DEP_1)
	v_rndne_f32_e32 v5, v4
	v_fma_f32 v4, 0xbfc90fda, v5, |v2|
	v_cvt_i32_f32_e32 v6, v5
	s_delay_alu instid0(VALU_DEP_2) | instskip(NEXT) | instid1(VALU_DEP_1)
	v_fmac_f32_e32 v4, 0xb3a22168, v5
	v_fmac_f32_e32 v4, 0xa7c234c4, v5
; %bb.86:                               ;   in Loop: Header=BB2_34 Depth=2
	s_or_b32 exec_lo, exec_lo, s10
	s_delay_alu instid0(VALU_DEP_1) | instskip(NEXT) | instid1(VALU_DEP_1)
	v_dual_mul_f32 v6, v4, v4 :: v_dual_bitop2_b32 v5, 1, v6 bitop3:0x40
	v_cmp_eq_u32_e32 vcc_lo, 0, v5
	s_delay_alu instid0(VALU_DEP_2) | instskip(SKIP_1) | instid1(VALU_DEP_2)
	v_fmaak_f32 v28, s53, v6, 0xbf039337
	v_fmaak_f32 v7, s58, v6, 0x3ec54587
	;; [unrolled: 1-line block ×3, first 2 shown]
	s_delay_alu instid0(VALU_DEP_1) | instskip(SKIP_1) | instid1(TRANS32_DEP_1)
	v_rcp_f32_e32 v28, v28
	v_nop
	v_mul_f32_e32 v7, v7, v28
	s_delay_alu instid0(VALU_DEP_1) | instskip(NEXT) | instid1(VALU_DEP_1)
	v_mul_f32_e32 v6, v6, v7
	v_fma_f32 v7, v6, v4, v4
	s_delay_alu instid0(VALU_DEP_1) | instskip(NEXT) | instid1(VALU_DEP_1)
	v_sub_f32_e32 v28, v7, v4
	v_fma_f32 v4, v6, v4, -v28
	v_rcp_f32_e32 v6, v7
	v_nop
	s_delay_alu instid0(TRANS32_DEP_1) | instskip(NEXT) | instid1(VALU_DEP_1)
	v_fma_f32 v28, v7, -v6, 1.0
	v_fma_f32 v4, v4, -v6, v28
	s_delay_alu instid0(VALU_DEP_1) | instskip(NEXT) | instid1(VALU_DEP_1)
	v_fma_f32 v4, v4, -v6, -v6
	v_cndmask_b32_e32 v4, v4, v7, vcc_lo
	v_cmp_class_f32_e64 vcc_lo, v2, 0x1f8
	s_delay_alu instid0(VALU_DEP_2) | instskip(NEXT) | instid1(VALU_DEP_1)
	v_xor3_b32 v3, v3, v2, v4
	v_cndmask_b32_e32 v2, 0x7fc00000, v3, vcc_lo
	s_delay_alu instid0(VALU_DEP_1) | instskip(NEXT) | instid1(VALU_DEP_1)
	v_mul_f32_e32 v2, v14, v2
	v_div_scale_f32 v3, null, v109, v109, v2
	s_delay_alu instid0(VALU_DEP_1) | instskip(SKIP_1) | instid1(TRANS32_DEP_1)
	v_rcp_f32_e32 v4, v3
	v_nop
	v_fma_f32 v5, -v3, v4, 1.0
	s_delay_alu instid0(VALU_DEP_1) | instskip(SKIP_1) | instid1(VALU_DEP_1)
	v_fmac_f32_e32 v4, v5, v4
	v_div_scale_f32 v5, vcc_lo, v2, v109, v2
	v_mul_f32_e32 v6, v5, v4
	s_delay_alu instid0(VALU_DEP_1) | instskip(NEXT) | instid1(VALU_DEP_1)
	v_fma_f32 v7, -v3, v6, v5
	v_fmac_f32_e32 v6, v7, v4
	s_delay_alu instid0(VALU_DEP_1) | instskip(NEXT) | instid1(VALU_DEP_1)
	v_fma_f32 v3, -v3, v6, v5
	v_div_fmas_f32 v3, v3, v4, v6
	s_delay_alu instid0(VALU_DEP_1) | instskip(NEXT) | instid1(VALU_DEP_1)
	v_div_fixup_f32 v2, v3, v109, v2
	v_pk_mul_f32 v[80:81], v[54:55], v[2:3] op_sel_hi:[1,0]
.LBB2_87:                               ;   in Loop: Header=BB2_34 Depth=2
	s_or_b32 exec_lo, exec_lo, s18
.LBB2_88:                               ;   in Loop: Header=BB2_34 Depth=2
	s_delay_alu instid0(SALU_CYCLE_1)
	s_or_b32 exec_lo, exec_lo, s17
                                        ; implicit-def: $vgpr2
.LBB2_89:                               ;   in Loop: Header=BB2_34 Depth=2
	s_and_not1_saveexec_b32 s16, s16
	s_cbranch_execz .LBB2_121
; %bb.90:                               ;   in Loop: Header=BB2_34 Depth=2
	s_mov_b32 s10, exec_lo
	v_cmpx_lt_i32_e32 41, v2
	s_xor_b32 s10, exec_lo, s10
	s_cbranch_execz .LBB2_96
; %bb.91:                               ;   in Loop: Header=BB2_34 Depth=2
	s_mov_b32 s11, exec_lo
                                        ; implicit-def: $vgpr81
	v_cmpx_lt_i32_e32 42, v2
	s_xor_b32 s11, exec_lo, s11
	s_cbranch_execz .LBB2_93
; %bb.92:                               ;   in Loop: Header=BB2_34 Depth=2
	global_load_b32 v2, v[24:25], off
	scratch_load_b64 v[4:5], off, off offset:84 ; 8-byte Folded Reload
	s_wait_loadcnt 0x0
	global_load_b32 v3, v[4:5], off
	s_wait_loadcnt 0x0
	v_pk_add_f32 v[80:81], v[2:3], -0.5 op_sel_hi:[1,0]
.LBB2_93:                               ;   in Loop: Header=BB2_34 Depth=2
	s_wait_xcnt 0x0
	s_and_not1_saveexec_b32 s11, s11
	s_cbranch_execz .LBB2_95
; %bb.94:                               ;   in Loop: Header=BB2_34 Depth=2
	s_wait_loadcnt 0x0
	v_dual_mov_b32 v81, v118 :: v_dual_mov_b32 v80, v117
.LBB2_95:                               ;   in Loop: Header=BB2_34 Depth=2
	s_or_b32 exec_lo, exec_lo, s11
                                        ; implicit-def: $vgpr2
.LBB2_96:                               ;   in Loop: Header=BB2_34 Depth=2
	s_and_not1_saveexec_b32 s17, s10
	s_cbranch_execz .LBB2_120
; %bb.97:                               ;   in Loop: Header=BB2_34 Depth=2
	s_mov_b32 s10, exec_lo
	v_cmpx_lt_i32_e32 40, v2
	s_xor_b32 s18, exec_lo, s10
	s_cbranch_execz .LBB2_107
; %bb.98:                               ;   in Loop: Header=BB2_34 Depth=2
	global_load_b32 v2, v[24:25], off
                                        ; implicit-def: $vgpr7
                                        ; implicit-def: $vgpr6
	s_wait_loadcnt 0x0
	v_mul_f32_e32 v2, 0x40490fdb, v2
	s_delay_alu instid0(VALU_DEP_1) | instskip(NEXT) | instid1(VALU_DEP_1)
	v_mul_f32_e32 v2, v14, v2
	v_and_b32_e32 v3, 0x7fffffff, v2
	s_delay_alu instid0(VALU_DEP_1) | instskip(SKIP_2) | instid1(VALU_DEP_3)
	v_lshrrev_b32_e32 v4, 23, v3
	v_cmp_ngt_f32_e64 s12, 0x48000000, |v2|
	v_and_or_b32 v28, v3, s49, 0x800000
	v_add_nc_u32_e32 v42, 0xffffff88, v4
	s_wait_xcnt 0x0
	s_and_saveexec_b32 s10, s12
	s_delay_alu instid0(SALU_CYCLE_1)
	s_xor_b32 s21, exec_lo, s10
	s_cbranch_execz .LBB2_100
; %bb.99:                               ;   in Loop: Header=BB2_34 Depth=2
	v_mul_u64_e32 v[4:5], s[34:35], v[28:29]
	v_mov_b32_e32 v7, v29
	v_cmp_lt_u32_e32 vcc_lo, 63, v42
	s_delay_alu instid0(VALU_DEP_3) | instskip(SKIP_1) | instid1(VALU_DEP_2)
	v_mov_b32_e32 v6, v5
	v_cndmask_b32_e64 v5, 0, 0xffffffc0, vcc_lo
	v_mad_nc_u64_u32 v[6:7], 0x3c439041, v28, v[6:7]
	s_delay_alu instid0(VALU_DEP_1) | instskip(NEXT) | instid1(VALU_DEP_1)
	v_dual_mov_b32 v49, v29 :: v_dual_mov_b32 v48, v7
	v_mad_nc_u64_u32 v[48:49], 0xdb629599, v28, v[48:49]
	s_delay_alu instid0(VALU_DEP_1) | instskip(NEXT) | instid1(VALU_DEP_2)
	v_dual_mov_b32 v81, v29 :: v_dual_mov_b32 v80, v49
	v_cndmask_b32_e32 v4, v48, v4, vcc_lo
	s_delay_alu instid0(VALU_DEP_2) | instskip(NEXT) | instid1(VALU_DEP_1)
	v_mad_nc_u64_u32 v[80:81], 0xf534ddc0, v28, v[80:81]
	v_dual_mov_b32 v83, v29 :: v_dual_mov_b32 v82, v81
	s_delay_alu instid0(VALU_DEP_2) | instskip(NEXT) | instid1(VALU_DEP_2)
	v_cndmask_b32_e32 v6, v80, v6, vcc_lo
	v_mad_nc_u64_u32 v[82:83], 0xfc2757d1, v28, v[82:83]
	s_delay_alu instid0(VALU_DEP_1) | instskip(NEXT) | instid1(VALU_DEP_1)
	v_dual_mov_b32 v89, v29 :: v_dual_mov_b32 v88, v83
	v_mad_nc_u64_u32 v[88:89], 0x4e441529, v28, v[88:89]
	v_add_nc_u32_e32 v5, v5, v42
	s_delay_alu instid0(VALU_DEP_2) | instskip(NEXT) | instid1(VALU_DEP_3)
	v_dual_mov_b32 v91, v29 :: v_dual_mov_b32 v90, v89
	v_cndmask_b32_e32 v43, v88, v80, vcc_lo
	s_delay_alu instid0(VALU_DEP_3) | instskip(NEXT) | instid1(VALU_DEP_3)
	v_cmp_lt_u32_e64 s10, 31, v5
	v_mad_nc_u64_u32 v[90:91], 0xa2f9836e, v28, v[90:91]
	s_delay_alu instid0(VALU_DEP_2) | instskip(NEXT) | instid1(VALU_DEP_1)
	v_cndmask_b32_e64 v7, 0, 0xffffffe0, s10
	v_dual_cndmask_b32 v4, v6, v4, s10 :: v_dual_add_nc_u32 v5, v7, v5
	s_delay_alu instid0(VALU_DEP_3) | instskip(NEXT) | instid1(VALU_DEP_2)
	v_cndmask_b32_e32 v49, v90, v82, vcc_lo
	v_cmp_lt_u32_e64 s11, 31, v5
	v_cndmask_b32_e32 v81, v91, v88, vcc_lo
	s_delay_alu instid0(VALU_DEP_2) | instskip(NEXT) | instid1(VALU_DEP_1)
	v_cndmask_b32_e64 v7, 0, 0xffffffe0, s11
	v_dual_cndmask_b32 v82, v82, v48 :: v_dual_add_nc_u32 v5, v7, v5
	s_delay_alu instid0(VALU_DEP_1) | instskip(NEXT) | instid1(VALU_DEP_4)
	v_dual_cndmask_b32 v7, v49, v43, s10 :: v_dual_cndmask_b32 v43, v43, v82, s10
	v_dual_cndmask_b32 v49, v81, v49, s10 :: v_dual_cndmask_b32 v81, v82, v6, s10
	s_delay_alu instid0(VALU_DEP_3) | instskip(SKIP_1) | instid1(VALU_DEP_3)
	v_sub_nc_u32_e32 v80, 32, v5
	v_cmp_eq_u32_e32 vcc_lo, 0, v5
	v_cndmask_b32_e64 v49, v49, v7, s11
	v_cndmask_b32_e64 v7, v7, v43, s11
	;; [unrolled: 1-line block ×3, first 2 shown]
	s_delay_alu instid0(VALU_DEP_2) | instskip(NEXT) | instid1(VALU_DEP_2)
	v_alignbit_b32 v82, v49, v7, v80
	v_alignbit_b32 v48, v7, v43, v80
	s_delay_alu instid0(VALU_DEP_1) | instskip(NEXT) | instid1(VALU_DEP_1)
	v_dual_cndmask_b32 v5, v82, v49 :: v_dual_cndmask_b32 v6, v48, v7
	v_bfe_u32 v7, v5, 29, 1
	v_cndmask_b32_e64 v4, v81, v4, s11
	s_delay_alu instid0(VALU_DEP_3) | instskip(NEXT) | instid1(VALU_DEP_3)
	v_alignbit_b32 v48, v5, v6, 30
	v_sub_nc_u32_e32 v49, 0, v7
	s_delay_alu instid0(VALU_DEP_3) | instskip(NEXT) | instid1(VALU_DEP_2)
	v_alignbit_b32 v80, v43, v4, v80
	v_xor_b32_e32 v48, v48, v49
	s_delay_alu instid0(VALU_DEP_2) | instskip(NEXT) | instid1(VALU_DEP_2)
	v_cndmask_b32_e32 v43, v80, v43, vcc_lo
	v_clz_i32_u32_e32 v80, v48
	s_delay_alu instid0(VALU_DEP_2) | instskip(NEXT) | instid1(VALU_DEP_2)
	v_alignbit_b32 v6, v6, v43, 30
	v_min_u32_e32 v80, 32, v80
	s_delay_alu instid0(VALU_DEP_2) | instskip(SKIP_1) | instid1(VALU_DEP_3)
	v_xor_b32_e32 v6, v6, v49
	v_alignbit_b32 v4, v43, v4, 30
	v_dual_sub_nc_u32 v43, 31, v80 :: v_dual_lshlrev_b32 v81, 23, v80
	s_delay_alu instid0(VALU_DEP_2) | instskip(SKIP_1) | instid1(VALU_DEP_3)
	v_xor_b32_e32 v4, v4, v49
	v_lshrrev_b32_e32 v49, 29, v5
	v_alignbit_b32 v48, v48, v6, v43
	s_delay_alu instid0(VALU_DEP_3) | instskip(NEXT) | instid1(VALU_DEP_3)
	v_alignbit_b32 v4, v6, v4, v43
	v_lshlrev_b32_e32 v6, 31, v49
	s_delay_alu instid0(VALU_DEP_2) | instskip(NEXT) | instid1(VALU_DEP_2)
	v_alignbit_b32 v43, v48, v4, 9
	v_dual_lshrrev_b32 v48, 9, v48 :: v_dual_bitop2_b32 v49, 0.5, v6 bitop3:0x54
	v_or_b32_e32 v6, 0x33000000, v6
	s_delay_alu instid0(VALU_DEP_3) | instskip(NEXT) | instid1(VALU_DEP_3)
	v_clz_i32_u32_e32 v82, v43
	v_sub_nc_u32_e32 v49, v49, v81
	s_delay_alu instid0(VALU_DEP_2) | instskip(NEXT) | instid1(VALU_DEP_1)
	v_min_u32_e32 v81, 32, v82
	v_add_lshl_u32 v80, v81, v80, 23
	s_delay_alu instid0(VALU_DEP_3) | instskip(SKIP_1) | instid1(VALU_DEP_3)
	v_or_b32_e32 v48, v48, v49
	v_not_b32_e32 v49, v81
	v_sub_nc_u32_e32 v6, v6, v80
	s_delay_alu instid0(VALU_DEP_3) | instskip(NEXT) | instid1(VALU_DEP_3)
	v_mul_f32_e32 v82, 0x3fc90fda, v48
	v_alignbit_b32 v4, v43, v4, v49
	s_delay_alu instid0(VALU_DEP_2) | instskip(NEXT) | instid1(VALU_DEP_2)
	v_fma_f32 v43, 0x3fc90fda, v48, -v82
	v_lshrrev_b32_e32 v4, 9, v4
	s_delay_alu instid0(VALU_DEP_2) | instskip(NEXT) | instid1(VALU_DEP_2)
	v_fmac_f32_e32 v43, 0x33a22168, v48
	v_or_b32_e32 v4, v6, v4
	s_delay_alu instid0(VALU_DEP_1) | instskip(NEXT) | instid1(VALU_DEP_1)
	v_dual_fmac_f32 v43, 0x3fc90fda, v4 :: v_dual_lshrrev_b32 v4, 30, v5
	v_dual_add_f32 v6, v82, v43 :: v_dual_add_nc_u32 v7, v7, v4
.LBB2_100:                              ;   in Loop: Header=BB2_34 Depth=2
	s_or_saveexec_b32 s10, s21
	v_mul_f32_e64 v4, 0x3f22f983, |v2|
	s_delay_alu instid0(VALU_DEP_1)
	v_rndne_f32_e32 v80, v4
	s_xor_b32 exec_lo, exec_lo, s10
; %bb.101:                              ;   in Loop: Header=BB2_34 Depth=2
	s_delay_alu instid0(VALU_DEP_1) | instskip(SKIP_1) | instid1(VALU_DEP_2)
	v_fma_f32 v6, 0xbfc90fda, v80, |v2|
	v_cvt_i32_f32_e32 v7, v80
	v_fmac_f32_e32 v6, 0xb3a22168, v80
	s_delay_alu instid0(VALU_DEP_1)
	v_fmac_f32_e32 v6, 0xa7c234c4, v80
; %bb.102:                              ;   in Loop: Header=BB2_34 Depth=2
	s_or_b32 exec_lo, exec_lo, s10
                                        ; implicit-def: $vgpr43
                                        ; implicit-def: $vgpr81
	s_and_saveexec_b32 s10, s12
	s_delay_alu instid0(SALU_CYCLE_1)
	s_xor_b32 s21, exec_lo, s10
	s_cbranch_execz .LBB2_104
; %bb.103:                              ;   in Loop: Header=BB2_34 Depth=2
	v_mul_u64_e32 v[80:81], s[34:35], v[28:29]
	v_mov_b32_e32 v5, v29
	v_cmp_lt_u32_e32 vcc_lo, 63, v42
	s_delay_alu instid0(VALU_DEP_3) | instskip(NEXT) | instid1(VALU_DEP_1)
	v_mov_b32_e32 v4, v81
	v_mad_nc_u64_u32 v[4:5], 0x3c439041, v28, v[4:5]
	s_delay_alu instid0(VALU_DEP_1) | instskip(SKIP_1) | instid1(VALU_DEP_2)
	v_dual_mov_b32 v49, v29 :: v_dual_mov_b32 v48, v5
	v_cndmask_b32_e64 v5, 0, 0xffffffc0, vcc_lo
	v_mad_nc_u64_u32 v[48:49], 0xdb629599, v28, v[48:49]
	v_mov_b32_e32 v83, v29
	s_delay_alu instid0(VALU_DEP_3) | instskip(NEXT) | instid1(VALU_DEP_3)
	v_add_nc_u32_e32 v5, v5, v42
	v_mov_b32_e32 v82, v49
	s_delay_alu instid0(VALU_DEP_1) | instskip(NEXT) | instid1(VALU_DEP_1)
	v_mad_nc_u64_u32 v[82:83], 0xf534ddc0, v28, v[82:83]
	v_dual_mov_b32 v89, v29 :: v_dual_mov_b32 v88, v83
	s_delay_alu instid0(VALU_DEP_2) | instskip(NEXT) | instid1(VALU_DEP_2)
	v_cndmask_b32_e32 v4, v82, v4, vcc_lo
	v_mad_nc_u64_u32 v[88:89], 0xfc2757d1, v28, v[88:89]
	s_delay_alu instid0(VALU_DEP_1) | instskip(NEXT) | instid1(VALU_DEP_1)
	v_dual_mov_b32 v91, v29 :: v_dual_mov_b32 v90, v89
	v_mad_nc_u64_u32 v[42:43], 0x4e441529, v28, v[90:91]
	s_delay_alu instid0(VALU_DEP_1) | instskip(SKIP_1) | instid1(VALU_DEP_3)
	v_mov_b32_e32 v90, v43
	v_cmp_lt_u32_e64 s10, 31, v5
	v_cndmask_b32_e32 v43, v42, v82, vcc_lo
	s_delay_alu instid0(VALU_DEP_3) | instskip(NEXT) | instid1(VALU_DEP_3)
	v_mad_nc_u64_u32 v[90:91], 0xa2f9836e, v28, v[90:91]
	v_cndmask_b32_e64 v49, 0, 0xffffffe0, s10
	s_delay_alu instid0(VALU_DEP_1) | instskip(NEXT) | instid1(VALU_DEP_1)
	v_add_nc_u32_e32 v5, v49, v5
	v_cmp_lt_u32_e64 s11, 31, v5
	s_delay_alu instid0(VALU_DEP_4) | instskip(SKIP_2) | instid1(VALU_DEP_4)
	v_dual_cndmask_b32 v49, v90, v88 :: v_dual_cndmask_b32 v42, v91, v42
	v_cndmask_b32_e32 v81, v88, v48, vcc_lo
	v_cndmask_b32_e32 v48, v48, v80, vcc_lo
	v_cndmask_b32_e64 v28, 0, 0xffffffe0, s11
	s_delay_alu instid0(VALU_DEP_1) | instskip(SKIP_2) | instid1(VALU_DEP_3)
	v_dual_add_nc_u32 v5, v28, v5 :: v_dual_cndmask_b32 v28, v49, v43, s10
	v_cndmask_b32_e64 v42, v42, v49, s10
	v_dual_cndmask_b32 v43, v43, v81, s10 :: v_dual_cndmask_b32 v81, v81, v4, s10
	v_sub_nc_u32_e32 v49, 32, v5
	v_cmp_eq_u32_e64 s12, 0, v5
	s_delay_alu instid0(VALU_DEP_3) | instskip(NEXT) | instid1(VALU_DEP_4)
	v_dual_cndmask_b32 v42, v42, v28, s11 :: v_dual_cndmask_b32 v28, v28, v43, s11
	v_dual_cndmask_b32 v5, v43, v81, s11 :: v_dual_cndmask_b32 v4, v4, v48, s10
	s_delay_alu instid0(VALU_DEP_2) | instskip(NEXT) | instid1(VALU_DEP_2)
	v_alignbit_b32 v43, v42, v28, v49
	v_alignbit_b32 v80, v28, v5, v49
	s_delay_alu instid0(VALU_DEP_2) | instskip(NEXT) | instid1(VALU_DEP_1)
	v_dual_cndmask_b32 v4, v81, v4, s11 :: v_dual_cndmask_b32 v42, v43, v42, s12
	v_alignbit_b32 v49, v5, v4, v49
	s_delay_alu instid0(VALU_DEP_2) | instskip(NEXT) | instid1(VALU_DEP_2)
	v_bfe_u32 v43, v42, 29, 1
	v_dual_cndmask_b32 v28, v80, v28, s12 :: v_dual_cndmask_b32 v5, v49, v5, s12
	s_delay_alu instid0(VALU_DEP_2) | instskip(NEXT) | instid1(VALU_DEP_2)
	v_sub_nc_u32_e32 v80, 0, v43
	v_alignbit_b32 v48, v42, v28, 30
	s_delay_alu instid0(VALU_DEP_3) | instskip(SKIP_1) | instid1(VALU_DEP_3)
	v_alignbit_b32 v28, v28, v5, 30
	v_alignbit_b32 v4, v5, v4, 30
	v_xor_b32_e32 v48, v48, v80
	s_delay_alu instid0(VALU_DEP_3) | instskip(NEXT) | instid1(VALU_DEP_3)
	v_xor_b32_e32 v5, v28, v80
	v_dual_lshrrev_b32 v80, 29, v42 :: v_dual_bitop2_b32 v4, v4, v80 bitop3:0x14
	s_delay_alu instid0(VALU_DEP_3) | instskip(NEXT) | instid1(VALU_DEP_1)
	v_clz_i32_u32_e32 v49, v48
	v_min_u32_e32 v49, 32, v49
	s_delay_alu instid0(VALU_DEP_1) | instskip(NEXT) | instid1(VALU_DEP_1)
	v_sub_nc_u32_e32 v28, 31, v49
	v_alignbit_b32 v48, v48, v5, v28
	v_alignbit_b32 v4, v5, v4, v28
	v_lshlrev_b32_e32 v5, 31, v80
	s_delay_alu instid0(VALU_DEP_2) | instskip(NEXT) | instid1(VALU_DEP_2)
	v_alignbit_b32 v28, v48, v4, 9
	v_dual_lshrrev_b32 v48, 9, v48 :: v_dual_bitop2_b32 v80, 0.5, v5 bitop3:0x54
	v_lshlrev_b32_e32 v81, 23, v49
	v_or_b32_e32 v5, 0x33000000, v5
	s_delay_alu instid0(VALU_DEP_4) | instskip(NEXT) | instid1(VALU_DEP_3)
	v_clz_i32_u32_e32 v82, v28
	v_sub_nc_u32_e32 v80, v80, v81
	s_delay_alu instid0(VALU_DEP_2) | instskip(NEXT) | instid1(VALU_DEP_2)
	v_min_u32_e32 v81, 32, v82
	v_or_b32_e32 v48, v48, v80
	s_delay_alu instid0(VALU_DEP_2) | instskip(SKIP_1) | instid1(VALU_DEP_3)
	v_not_b32_e32 v80, v81
	v_add_lshl_u32 v49, v81, v49, 23
	v_mul_f32_e32 v82, 0x3fc90fda, v48
	s_delay_alu instid0(VALU_DEP_3) | instskip(NEXT) | instid1(VALU_DEP_3)
	v_alignbit_b32 v4, v28, v4, v80
	v_sub_nc_u32_e32 v5, v5, v49
                                        ; implicit-def: $vgpr80
	s_delay_alu instid0(VALU_DEP_3) | instskip(NEXT) | instid1(VALU_DEP_3)
	v_fma_f32 v28, 0x3fc90fda, v48, -v82
	v_lshrrev_b32_e32 v4, 9, v4
	s_delay_alu instid0(VALU_DEP_2) | instskip(NEXT) | instid1(VALU_DEP_2)
	v_fmac_f32_e32 v28, 0x33a22168, v48
	v_or_b32_e32 v4, v5, v4
	s_delay_alu instid0(VALU_DEP_1) | instskip(SKIP_1) | instid1(VALU_DEP_1)
	v_fmac_f32_e32 v28, 0x3fc90fda, v4
	v_lshrrev_b32_e32 v4, 30, v42
	v_add_nc_u32_e32 v43, v43, v4
	s_delay_alu instid0(VALU_DEP_3)
	v_add_f32_e32 v81, v82, v28
	s_and_not1_saveexec_b32 s10, s21
	s_cbranch_execnz .LBB2_105
	s_branch .LBB2_106
.LBB2_104:                              ;   in Loop: Header=BB2_34 Depth=2
	s_and_not1_saveexec_b32 s10, s21
.LBB2_105:                              ;   in Loop: Header=BB2_34 Depth=2
	v_fma_f32 v81, 0xbfc90fda, v80, |v2|
	v_cvt_i32_f32_e32 v43, v80
	s_delay_alu instid0(VALU_DEP_2) | instskip(NEXT) | instid1(VALU_DEP_1)
	v_fmac_f32_e32 v81, 0xb3a22168, v80
	v_fmac_f32_e32 v81, 0xa7c234c4, v80
.LBB2_106:                              ;   in Loop: Header=BB2_34 Depth=2
	s_or_b32 exec_lo, exec_lo, s10
	v_mul_f32_e32 v4, v6, v6
	v_xor_b32_e32 v3, v3, v2
	s_delay_alu instid0(VALU_DEP_2) | instskip(NEXT) | instid1(VALU_DEP_1)
	v_fmaak_f32 v5, s54, v4, 0x3c0881c4
	v_fmaak_f32 v5, v4, v5, 0xbe2aaa9d
	s_delay_alu instid0(VALU_DEP_1) | instskip(NEXT) | instid1(VALU_DEP_1)
	v_mul_f32_e32 v5, v4, v5
	v_dual_fmac_f32 v6, v6, v5 :: v_dual_fmaak_f32 v5, s56, v4, 0xbab64f3b
	s_delay_alu instid0(VALU_DEP_1) | instskip(NEXT) | instid1(VALU_DEP_1)
	v_fmaak_f32 v5, v4, v5, 0x3d2aabf7
	v_fmaak_f32 v5, v4, v5, 0xbf000004
	s_delay_alu instid0(VALU_DEP_1) | instskip(SKIP_1) | instid1(VALU_DEP_1)
	v_fma_f32 v4, v4, v5, 1.0
	v_and_b32_e32 v5, 1, v7
	v_cmp_eq_u32_e32 vcc_lo, 0, v5
	s_delay_alu instid0(VALU_DEP_3) | instskip(NEXT) | instid1(VALU_DEP_1)
	v_dual_cndmask_b32 v4, v4, v6 :: v_dual_lshlrev_b32 v5, 30, v7
	v_and_b32_e32 v5, 0x80000000, v5
	v_cmp_class_f32_e64 vcc_lo, v2, 0x1f8
	s_delay_alu instid0(VALU_DEP_2) | instskip(NEXT) | instid1(VALU_DEP_1)
	v_xor3_b32 v3, v3, v5, v4
	v_dual_cndmask_b32 v80, 0x7fc00000, v3 :: v_dual_mul_f32 v3, v81, v81
	s_delay_alu instid0(VALU_DEP_1) | instskip(NEXT) | instid1(VALU_DEP_1)
	v_fmaak_f32 v4, s54, v3, 0x3c0881c4
	v_fmaak_f32 v4, v3, v4, 0xbe2aaa9d
	s_delay_alu instid0(VALU_DEP_1) | instskip(NEXT) | instid1(VALU_DEP_1)
	v_mul_f32_e32 v4, v3, v4
	v_dual_fmac_f32 v81, v81, v4 :: v_dual_fmaak_f32 v4, s56, v3, 0xbab64f3b
	v_mul_f32_e32 v2, v80, v80
	s_delay_alu instid0(VALU_DEP_2) | instskip(NEXT) | instid1(VALU_DEP_1)
	v_fmaak_f32 v4, v3, v4, 0x3d2aabf7
	v_fmaak_f32 v4, v3, v4, 0xbf000004
	s_delay_alu instid0(VALU_DEP_1) | instskip(SKIP_1) | instid1(VALU_DEP_1)
	v_fma_f32 v3, v3, v4, 1.0
	v_and_b32_e32 v4, 1, v43
	v_cmp_eq_u32_e64 s10, 0, v4
	v_lshlrev_b32_e32 v4, 30, v43
	s_delay_alu instid0(VALU_DEP_2) | instskip(NEXT) | instid1(VALU_DEP_1)
	v_cndmask_b32_e64 v3, -v81, v3, s10
	v_bitop3_b32 v3, v4, v3, 0x80000000 bitop3:0x6c
	s_delay_alu instid0(VALU_DEP_1) | instskip(NEXT) | instid1(VALU_DEP_1)
	v_cndmask_b32_e32 v3, 0x7fc00000, v3, vcc_lo
	v_div_scale_f32 v4, null, v3, v3, v2
	s_delay_alu instid0(VALU_DEP_1) | instskip(SKIP_1) | instid1(TRANS32_DEP_1)
	v_rcp_f32_e32 v5, v4
	v_nop
	v_fma_f32 v6, -v4, v5, 1.0
	s_delay_alu instid0(VALU_DEP_1) | instskip(SKIP_1) | instid1(VALU_DEP_1)
	v_fmac_f32_e32 v5, v6, v5
	v_div_scale_f32 v6, vcc_lo, v2, v3, v2
	v_mul_f32_e32 v7, v6, v5
	s_delay_alu instid0(VALU_DEP_1) | instskip(NEXT) | instid1(VALU_DEP_1)
	v_fma_f32 v28, -v4, v7, v6
	v_fmac_f32_e32 v7, v28, v5
	s_delay_alu instid0(VALU_DEP_1) | instskip(NEXT) | instid1(VALU_DEP_1)
	v_fma_f32 v4, -v4, v7, v6
	v_div_fmas_f32 v4, v4, v5, v7
	s_delay_alu instid0(VALU_DEP_1)
	v_div_fixup_f32 v81, v4, v3, v2
                                        ; implicit-def: $vgpr2
.LBB2_107:                              ;   in Loop: Header=BB2_34 Depth=2
	s_and_not1_saveexec_b32 s18, s18
	s_cbranch_execz .LBB2_119
; %bb.108:                              ;   in Loop: Header=BB2_34 Depth=2
	s_mov_b32 s21, exec_lo
	v_cmpx_eq_u32_e32 34, v2
	s_cbranch_execz .LBB2_118
; %bb.109:                              ;   in Loop: Header=BB2_34 Depth=2
	global_load_b32 v2, v[24:25], off
	scratch_load_b64 v[4:5], off, off offset:84 ; 8-byte Folded Reload
                                        ; implicit-def: $vgpr3
	s_wait_loadcnt 0x1
	v_add_f32_e32 v2, v2, v2
	s_wait_loadcnt 0x0
	global_load_b32 v82, v[4:5], off
	v_mul_f32_e32 v83, 0x40490fdb, v2
	s_delay_alu instid0(VALU_DEP_1) | instskip(NEXT) | instid1(VALU_DEP_1)
	v_and_b32_e32 v88, 0x7fffffff, v83
	v_lshrrev_b32_e32 v2, 23, v88
	v_cmp_ngt_f32_e64 s12, 0x48000000, |v83|
	v_and_or_b32 v28, v88, s49, 0x800000
	s_delay_alu instid0(VALU_DEP_3) | instskip(SKIP_2) | instid1(SALU_CYCLE_1)
	v_add_nc_u32_e32 v6, 0xffffff88, v2
                                        ; implicit-def: $vgpr2
	s_wait_xcnt 0x0
	s_and_saveexec_b32 s10, s12
	s_xor_b32 s22, exec_lo, s10
	s_cbranch_execz .LBB2_111
; %bb.110:                              ;   in Loop: Header=BB2_34 Depth=2
	v_mul_u64_e32 v[2:3], s[34:35], v[28:29]
	v_mov_b32_e32 v5, v29
	v_cmp_lt_u32_e32 vcc_lo, 63, v6
	s_delay_alu instid0(VALU_DEP_3) | instskip(SKIP_1) | instid1(VALU_DEP_2)
	v_dual_mov_b32 v93, v29 :: v_dual_mov_b32 v4, v3
	v_cndmask_b32_e64 v3, 0, 0xffffffc0, vcc_lo
	v_mad_nc_u64_u32 v[4:5], 0x3c439041, v28, v[4:5]
	s_delay_alu instid0(VALU_DEP_2) | instskip(NEXT) | instid1(VALU_DEP_1)
	v_dual_mov_b32 v43, v29 :: v_dual_add_nc_u32 v3, v3, v6
	v_cmp_lt_u32_e64 s10, 31, v3
	s_delay_alu instid0(VALU_DEP_3) | instskip(NEXT) | instid1(VALU_DEP_2)
	v_mov_b32_e32 v42, v5
	v_cndmask_b32_e64 v5, 0, 0xffffffe0, s10
	s_delay_alu instid0(VALU_DEP_2) | instskip(SKIP_1) | instid1(VALU_DEP_3)
	v_mad_nc_u64_u32 v[42:43], 0xdb629599, v28, v[42:43]
	v_mov_b32_e32 v49, v29
	v_add_nc_u32_e32 v3, v5, v3
	s_delay_alu instid0(VALU_DEP_1) | instskip(NEXT) | instid1(VALU_DEP_4)
	v_cmp_lt_u32_e64 s11, 31, v3
	v_mov_b32_e32 v48, v43
	s_delay_alu instid0(VALU_DEP_2) | instskip(NEXT) | instid1(VALU_DEP_2)
	v_cndmask_b32_e64 v5, 0, 0xffffffe0, s11
	v_mad_nc_u64_u32 v[48:49], 0xf534ddc0, v28, v[48:49]
	v_mov_b32_e32 v81, v29
	s_delay_alu instid0(VALU_DEP_3) | instskip(NEXT) | instid1(VALU_DEP_3)
	v_add_nc_u32_e32 v3, v5, v3
	v_mov_b32_e32 v80, v49
	s_delay_alu instid0(VALU_DEP_1) | instskip(NEXT) | instid1(VALU_DEP_1)
	v_mad_nc_u64_u32 v[80:81], 0xfc2757d1, v28, v[80:81]
	v_dual_mov_b32 v91, v29 :: v_dual_mov_b32 v90, v81
	s_delay_alu instid0(VALU_DEP_1) | instskip(NEXT) | instid1(VALU_DEP_1)
	v_mad_nc_u64_u32 v[90:91], 0x4e441529, v28, v[90:91]
	v_mov_b32_e32 v92, v91
	s_delay_alu instid0(VALU_DEP_1) | instskip(NEXT) | instid1(VALU_DEP_1)
	v_mad_nc_u64_u32 v[92:93], 0xa2f9836e, v28, v[92:93]
	v_dual_cndmask_b32 v7, v90, v48, vcc_lo :: v_dual_cndmask_b32 v49, v93, v90, vcc_lo
	s_delay_alu instid0(VALU_DEP_2) | instskip(SKIP_2) | instid1(VALU_DEP_3)
	v_cndmask_b32_e32 v43, v92, v80, vcc_lo
	v_cndmask_b32_e32 v80, v80, v42, vcc_lo
	v_dual_cndmask_b32 v4, v48, v4, vcc_lo :: v_dual_sub_nc_u32 v48, 32, v3
	v_cndmask_b32_e64 v5, v43, v7, s10
	s_delay_alu instid0(VALU_DEP_3) | instskip(NEXT) | instid1(VALU_DEP_1)
	v_dual_cndmask_b32 v43, v49, v43, s10 :: v_dual_cndmask_b32 v7, v7, v80, s10
	v_dual_cndmask_b32 v49, v80, v4, s10 :: v_dual_cndmask_b32 v43, v43, v5, s11
	s_delay_alu instid0(VALU_DEP_1) | instskip(NEXT) | instid1(VALU_DEP_1)
	v_dual_cndmask_b32 v5, v5, v7, s11 :: v_dual_cndmask_b32 v7, v7, v49, s11
	v_alignbit_b32 v80, v43, v5, v48
	v_cndmask_b32_e32 v2, v42, v2, vcc_lo
	v_cmp_eq_u32_e32 vcc_lo, 0, v3
	s_delay_alu instid0(VALU_DEP_4) | instskip(NEXT) | instid1(VALU_DEP_4)
	v_alignbit_b32 v42, v5, v7, v48
	v_cndmask_b32_e32 v3, v80, v43, vcc_lo
	s_delay_alu instid0(VALU_DEP_2) | instskip(NEXT) | instid1(VALU_DEP_2)
	v_dual_cndmask_b32 v2, v4, v2, s10 :: v_dual_cndmask_b32 v4, v42, v5, vcc_lo
	v_bfe_u32 v5, v3, 29, 1
	s_delay_alu instid0(VALU_DEP_2) | instskip(NEXT) | instid1(VALU_DEP_3)
	v_cndmask_b32_e64 v2, v49, v2, s11
	v_alignbit_b32 v42, v3, v4, 30
	s_delay_alu instid0(VALU_DEP_3) | instskip(NEXT) | instid1(VALU_DEP_3)
	v_sub_nc_u32_e32 v43, 0, v5
	v_alignbit_b32 v48, v7, v2, v48
	s_delay_alu instid0(VALU_DEP_2) | instskip(NEXT) | instid1(VALU_DEP_2)
	v_xor_b32_e32 v42, v42, v43
	v_cndmask_b32_e32 v7, v48, v7, vcc_lo
	s_delay_alu instid0(VALU_DEP_2) | instskip(NEXT) | instid1(VALU_DEP_2)
	v_clz_i32_u32_e32 v48, v42
	v_alignbit_b32 v4, v4, v7, 30
	v_alignbit_b32 v2, v7, v2, 30
	s_delay_alu instid0(VALU_DEP_3) | instskip(NEXT) | instid1(VALU_DEP_3)
	v_min_u32_e32 v48, 32, v48
	v_xor_b32_e32 v4, v4, v43
	s_delay_alu instid0(VALU_DEP_2) | instskip(SKIP_1) | instid1(VALU_DEP_2)
	v_dual_sub_nc_u32 v7, 31, v48 :: v_dual_bitop2_b32 v2, v2, v43 bitop3:0x14
	v_lshlrev_b32_e32 v49, 23, v48
	v_alignbit_b32 v42, v42, v4, v7
	v_lshrrev_b32_e32 v43, 29, v3
	s_delay_alu instid0(VALU_DEP_4) | instskip(SKIP_1) | instid1(VALU_DEP_2)
	v_alignbit_b32 v2, v4, v2, v7
	v_lshrrev_b32_e32 v3, 30, v3
	v_alignbit_b32 v7, v42, v2, 9
	s_delay_alu instid0(VALU_DEP_4) | instskip(NEXT) | instid1(VALU_DEP_3)
	v_dual_lshrrev_b32 v42, 9, v42 :: v_dual_lshlrev_b32 v4, 31, v43
	v_add_nc_u32_e32 v3, v5, v3
	s_delay_alu instid0(VALU_DEP_3) | instskip(NEXT) | instid1(VALU_DEP_3)
	v_clz_i32_u32_e32 v80, v7
	v_or_b32_e32 v43, 0.5, v4
	v_or_b32_e32 v4, 0x33000000, v4
	s_delay_alu instid0(VALU_DEP_2) | instskip(NEXT) | instid1(VALU_DEP_4)
	v_sub_nc_u32_e32 v43, v43, v49
	v_min_u32_e32 v49, 32, v80
	s_delay_alu instid0(VALU_DEP_1) | instskip(NEXT) | instid1(VALU_DEP_3)
	v_add_lshl_u32 v48, v49, v48, 23
	v_or_b32_e32 v42, v42, v43
	v_not_b32_e32 v43, v49
	s_delay_alu instid0(VALU_DEP_3) | instskip(NEXT) | instid1(VALU_DEP_3)
	v_sub_nc_u32_e32 v4, v4, v48
	v_mul_f32_e32 v80, 0x3fc90fda, v42
	s_delay_alu instid0(VALU_DEP_3) | instskip(NEXT) | instid1(VALU_DEP_2)
	v_alignbit_b32 v2, v7, v2, v43
	v_fma_f32 v7, 0x3fc90fda, v42, -v80
	s_delay_alu instid0(VALU_DEP_2) | instskip(NEXT) | instid1(VALU_DEP_2)
	v_lshrrev_b32_e32 v2, 9, v2
	v_fmac_f32_e32 v7, 0x33a22168, v42
	s_delay_alu instid0(VALU_DEP_2) | instskip(NEXT) | instid1(VALU_DEP_1)
	v_or_b32_e32 v2, v4, v2
	v_fmac_f32_e32 v7, 0x3fc90fda, v2
	s_delay_alu instid0(VALU_DEP_1)
	v_add_f32_e32 v2, v80, v7
.LBB2_111:                              ;   in Loop: Header=BB2_34 Depth=2
	s_or_saveexec_b32 s10, s22
	v_mul_f32_e64 v4, 0x3f22f983, |v83|
	s_delay_alu instid0(VALU_DEP_1)
	v_rndne_f32_e32 v43, v4
	s_xor_b32 exec_lo, exec_lo, s10
; %bb.112:                              ;   in Loop: Header=BB2_34 Depth=2
	s_delay_alu instid0(VALU_DEP_1) | instskip(SKIP_1) | instid1(VALU_DEP_2)
	v_fma_f32 v2, 0xbfc90fda, v43, |v83|
	v_cvt_i32_f32_e32 v3, v43
	v_fmac_f32_e32 v2, 0xb3a22168, v43
	s_delay_alu instid0(VALU_DEP_1)
	v_fmac_f32_e32 v2, 0xa7c234c4, v43
; %bb.113:                              ;   in Loop: Header=BB2_34 Depth=2
	s_or_b32 exec_lo, exec_lo, s10
                                        ; implicit-def: $vgpr7
                                        ; implicit-def: $vgpr42
	s_and_saveexec_b32 s10, s12
	s_delay_alu instid0(SALU_CYCLE_1)
	s_xor_b32 s22, exec_lo, s10
	s_cbranch_execz .LBB2_115
; %bb.114:                              ;   in Loop: Header=BB2_34 Depth=2
	v_mul_u64_e32 v[80:81], s[34:35], v[28:29]
	v_mov_b32_e32 v5, v29
	v_cmp_lt_u32_e32 vcc_lo, 63, v6
	s_delay_alu instid0(VALU_DEP_3) | instskip(NEXT) | instid1(VALU_DEP_1)
	v_mov_b32_e32 v4, v81
	v_mad_nc_u64_u32 v[4:5], 0x3c439041, v28, v[4:5]
	s_delay_alu instid0(VALU_DEP_1) | instskip(SKIP_1) | instid1(VALU_DEP_2)
	v_dual_mov_b32 v43, v29 :: v_dual_mov_b32 v42, v5
	v_cndmask_b32_e64 v5, 0, 0xffffffc0, vcc_lo
	v_mad_nc_u64_u32 v[42:43], 0xdb629599, v28, v[42:43]
	v_mov_b32_e32 v49, v29
	s_delay_alu instid0(VALU_DEP_2) | instskip(NEXT) | instid1(VALU_DEP_1)
	v_dual_mov_b32 v48, v43 :: v_dual_add_nc_u32 v5, v5, v6
	v_mad_nc_u64_u32 v[48:49], 0xf534ddc0, v28, v[48:49]
	s_delay_alu instid0(VALU_DEP_1) | instskip(NEXT) | instid1(VALU_DEP_2)
	v_dual_mov_b32 v91, v29 :: v_dual_mov_b32 v90, v49
	v_cndmask_b32_e32 v4, v48, v4, vcc_lo
	s_delay_alu instid0(VALU_DEP_2) | instskip(NEXT) | instid1(VALU_DEP_1)
	v_mad_nc_u64_u32 v[90:91], 0xfc2757d1, v28, v[90:91]
	v_dual_mov_b32 v93, v29 :: v_dual_mov_b32 v92, v91
	s_delay_alu instid0(VALU_DEP_1) | instskip(NEXT) | instid1(VALU_DEP_1)
	v_mad_nc_u64_u32 v[6:7], 0x4e441529, v28, v[92:93]
	v_mov_b32_e32 v92, v7
	v_cmp_lt_u32_e64 s10, 31, v5
	s_delay_alu instid0(VALU_DEP_2) | instskip(NEXT) | instid1(VALU_DEP_2)
	v_mad_nc_u64_u32 v[92:93], 0xa2f9836e, v28, v[92:93]
	v_cndmask_b32_e64 v43, 0, 0xffffffe0, s10
	s_delay_alu instid0(VALU_DEP_1) | instskip(NEXT) | instid1(VALU_DEP_1)
	v_dual_cndmask_b32 v28, v6, v48 :: v_dual_add_nc_u32 v5, v43, v5
	v_cmp_lt_u32_e64 s11, 31, v5
	s_delay_alu instid0(VALU_DEP_4) | instskip(NEXT) | instid1(VALU_DEP_2)
	v_cndmask_b32_e32 v6, v93, v6, vcc_lo
	v_cndmask_b32_e64 v7, 0, 0xffffffe0, s11
	v_cndmask_b32_e32 v43, v92, v90, vcc_lo
	s_delay_alu instid0(VALU_DEP_2) | instskip(NEXT) | instid1(VALU_DEP_2)
	v_dual_cndmask_b32 v49, v90, v42, vcc_lo :: v_dual_add_nc_u32 v5, v7, v5
	v_dual_cndmask_b32 v7, v43, v28, s10 :: v_dual_cndmask_b32 v6, v6, v43, s10
	s_delay_alu instid0(VALU_DEP_2) | instskip(NEXT) | instid1(VALU_DEP_3)
	v_dual_cndmask_b32 v28, v28, v49, s10 :: v_dual_cndmask_b32 v48, v49, v4, s10
	v_sub_nc_u32_e32 v43, 32, v5
	v_cmp_eq_u32_e64 s12, 0, v5
	s_delay_alu instid0(VALU_DEP_3) | instskip(NEXT) | instid1(VALU_DEP_4)
	v_dual_cndmask_b32 v6, v6, v7, s11 :: v_dual_cndmask_b32 v7, v7, v28, s11
	v_cndmask_b32_e64 v5, v28, v48, s11
	s_delay_alu instid0(VALU_DEP_2) | instskip(NEXT) | instid1(VALU_DEP_1)
	v_alignbit_b32 v28, v6, v7, v43
	v_cndmask_b32_e64 v6, v28, v6, s12
	s_delay_alu instid0(VALU_DEP_3) | instskip(SKIP_1) | instid1(VALU_DEP_3)
	v_alignbit_b32 v49, v7, v5, v43
	v_cndmask_b32_e32 v42, v42, v80, vcc_lo
	v_bfe_u32 v28, v6, 29, 1
	s_delay_alu instid0(VALU_DEP_2) | instskip(NEXT) | instid1(VALU_DEP_1)
	v_dual_cndmask_b32 v7, v49, v7, s12 :: v_dual_cndmask_b32 v4, v4, v42, s10
	v_alignbit_b32 v42, v6, v7, 30
	s_delay_alu instid0(VALU_DEP_2) | instskip(NEXT) | instid1(VALU_DEP_4)
	v_cndmask_b32_e64 v4, v48, v4, s11
	v_sub_nc_u32_e32 v48, 0, v28
	s_delay_alu instid0(VALU_DEP_2) | instskip(NEXT) | instid1(VALU_DEP_1)
	v_alignbit_b32 v43, v5, v4, v43
	v_dual_cndmask_b32 v5, v43, v5, s12 :: v_dual_bitop2_b32 v42, v42, v48 bitop3:0x14
	s_delay_alu instid0(VALU_DEP_1) | instskip(NEXT) | instid1(VALU_DEP_2)
	v_clz_i32_u32_e32 v43, v42
	v_alignbit_b32 v7, v7, v5, 30
	s_delay_alu instid0(VALU_DEP_2) | instskip(SKIP_1) | instid1(VALU_DEP_2)
	v_min_u32_e32 v43, 32, v43
	v_alignbit_b32 v4, v5, v4, 30
	v_dual_sub_nc_u32 v7, 31, v43 :: v_dual_bitop2_b32 v5, v7, v48 bitop3:0x14
	s_delay_alu instid0(VALU_DEP_2) | instskip(SKIP_1) | instid1(VALU_DEP_3)
	v_dual_lshrrev_b32 v48, 29, v6 :: v_dual_bitop2_b32 v4, v4, v48 bitop3:0x14
	v_lshlrev_b32_e32 v49, 23, v43
	v_alignbit_b32 v42, v42, v5, v7
	s_delay_alu instid0(VALU_DEP_3) | instskip(NEXT) | instid1(VALU_DEP_4)
	v_alignbit_b32 v4, v5, v4, v7
	v_lshlrev_b32_e32 v5, 31, v48
	s_delay_alu instid0(VALU_DEP_2) | instskip(NEXT) | instid1(VALU_DEP_2)
	v_alignbit_b32 v7, v42, v4, 9
	v_dual_lshrrev_b32 v42, 9, v42 :: v_dual_bitop2_b32 v48, 0.5, v5 bitop3:0x54
	v_or_b32_e32 v5, 0x33000000, v5
	s_delay_alu instid0(VALU_DEP_3) | instskip(NEXT) | instid1(VALU_DEP_3)
	v_clz_i32_u32_e32 v80, v7
	v_sub_nc_u32_e32 v48, v48, v49
	s_delay_alu instid0(VALU_DEP_2) | instskip(NEXT) | instid1(VALU_DEP_1)
	v_min_u32_e32 v49, 32, v80
	v_add_lshl_u32 v43, v49, v43, 23
	s_delay_alu instid0(VALU_DEP_3) | instskip(SKIP_1) | instid1(VALU_DEP_3)
	v_or_b32_e32 v42, v42, v48
	v_not_b32_e32 v48, v49
	v_sub_nc_u32_e32 v5, v5, v43
                                        ; implicit-def: $vgpr43
	s_delay_alu instid0(VALU_DEP_2) | instskip(NEXT) | instid1(VALU_DEP_1)
	v_alignbit_b32 v4, v7, v4, v48
	v_lshrrev_b32_e32 v4, 9, v4
	s_delay_alu instid0(VALU_DEP_1) | instskip(SKIP_1) | instid1(VALU_DEP_1)
	v_or_b32_e32 v4, v5, v4
	v_mul_f32_e32 v80, 0x3fc90fda, v42
	v_fma_f32 v7, 0x3fc90fda, v42, -v80
	s_delay_alu instid0(VALU_DEP_1) | instskip(NEXT) | instid1(VALU_DEP_1)
	v_fmac_f32_e32 v7, 0x33a22168, v42
	v_dual_fmac_f32 v7, 0x3fc90fda, v4 :: v_dual_lshrrev_b32 v4, 30, v6
	s_delay_alu instid0(VALU_DEP_1) | instskip(NEXT) | instid1(VALU_DEP_2)
	v_add_f32_e32 v42, v80, v7
	v_add_nc_u32_e32 v7, v28, v4
	s_and_not1_saveexec_b32 s10, s22
	s_cbranch_execnz .LBB2_116
	s_branch .LBB2_117
.LBB2_115:                              ;   in Loop: Header=BB2_34 Depth=2
	s_and_not1_saveexec_b32 s10, s22
.LBB2_116:                              ;   in Loop: Header=BB2_34 Depth=2
	v_fma_f32 v42, 0xbfc90fda, v43, |v83|
	v_cvt_i32_f32_e32 v7, v43
	s_delay_alu instid0(VALU_DEP_2) | instskip(NEXT) | instid1(VALU_DEP_1)
	v_fmac_f32_e32 v42, 0xb3a22168, v43
	v_fmac_f32_e32 v42, 0xa7c234c4, v43
.LBB2_117:                              ;   in Loop: Header=BB2_34 Depth=2
	s_or_b32 exec_lo, exec_lo, s10
	v_mul_f32_e32 v4, v2, v2
	s_delay_alu instid0(VALU_DEP_1) | instskip(NEXT) | instid1(VALU_DEP_1)
	v_fmaak_f32 v5, s54, v4, 0x3c0881c4
	v_fmaak_f32 v5, v4, v5, 0xbe2aaa9d
	s_delay_alu instid0(VALU_DEP_1) | instskip(NEXT) | instid1(VALU_DEP_1)
	v_mul_f32_e32 v5, v4, v5
	v_dual_fmac_f32 v2, v2, v5 :: v_dual_fmaak_f32 v5, s56, v4, 0xbab64f3b
	s_delay_alu instid0(VALU_DEP_1) | instskip(NEXT) | instid1(VALU_DEP_1)
	v_fmaak_f32 v5, v4, v5, 0x3d2aabf7
	v_fmaak_f32 v5, v4, v5, 0xbf000004
	s_delay_alu instid0(VALU_DEP_1) | instskip(SKIP_1) | instid1(VALU_DEP_1)
	v_fma_f32 v4, v4, v5, 1.0
	v_dual_lshlrev_b32 v3, 30, v3 :: v_dual_bitop2_b32 v5, 1, v3 bitop3:0x40
	v_cmp_eq_u32_e32 vcc_lo, 0, v5
	s_delay_alu instid0(VALU_DEP_3) | instskip(SKIP_2) | instid1(VALU_DEP_3)
	v_cndmask_b32_e64 v2, -v2, v4, vcc_lo
	v_cmp_class_f32_e64 vcc_lo, v83, 0x1f8
	v_xor_b32_e32 v4, v88, v83
	v_bitop3_b32 v2, v3, v2, 0x80000000 bitop3:0x6c
	s_delay_alu instid0(VALU_DEP_1) | instskip(SKIP_1) | instid1(VALU_DEP_1)
	v_cndmask_b32_e32 v2, 0x7fc00000, v2, vcc_lo
	s_wait_loadcnt 0x0
	v_mul_f32_e32 v80, v82, v2
	v_mul_f32_e32 v2, v42, v42
	s_delay_alu instid0(VALU_DEP_1) | instskip(NEXT) | instid1(VALU_DEP_1)
	v_fmaak_f32 v3, s54, v2, 0x3c0881c4
	v_fmaak_f32 v3, v2, v3, 0xbe2aaa9d
	s_delay_alu instid0(VALU_DEP_1) | instskip(NEXT) | instid1(VALU_DEP_1)
	v_mul_f32_e32 v3, v2, v3
	v_dual_fmac_f32 v42, v42, v3 :: v_dual_fmaak_f32 v3, s56, v2, 0xbab64f3b
	s_delay_alu instid0(VALU_DEP_1) | instskip(NEXT) | instid1(VALU_DEP_1)
	v_fmaak_f32 v3, v2, v3, 0x3d2aabf7
	v_fmaak_f32 v3, v2, v3, 0xbf000004
	s_delay_alu instid0(VALU_DEP_1) | instskip(SKIP_1) | instid1(VALU_DEP_1)
	v_fma_f32 v2, v2, v3, 1.0
	v_and_b32_e32 v3, 1, v7
	v_cmp_eq_u32_e64 s10, 0, v3
	s_delay_alu instid0(VALU_DEP_1) | instskip(NEXT) | instid1(VALU_DEP_1)
	v_dual_lshlrev_b32 v3, 30, v7 :: v_dual_cndmask_b32 v2, v2, v42, s10
	v_and_b32_e32 v3, 0x80000000, v3
	s_delay_alu instid0(VALU_DEP_1) | instskip(NEXT) | instid1(VALU_DEP_1)
	v_xor3_b32 v2, v4, v3, v2
	v_cndmask_b32_e32 v2, 0x7fc00000, v2, vcc_lo
	s_delay_alu instid0(VALU_DEP_1)
	v_mul_f32_e32 v81, v82, v2
.LBB2_118:                              ;   in Loop: Header=BB2_34 Depth=2
	s_or_b32 exec_lo, exec_lo, s21
.LBB2_119:                              ;   in Loop: Header=BB2_34 Depth=2
	s_delay_alu instid0(SALU_CYCLE_1)
	s_or_b32 exec_lo, exec_lo, s18
.LBB2_120:                              ;   in Loop: Header=BB2_34 Depth=2
	s_delay_alu instid0(SALU_CYCLE_1)
	s_or_b32 exec_lo, exec_lo, s17
.LBB2_121:                              ;   in Loop: Header=BB2_34 Depth=2
	s_delay_alu instid0(SALU_CYCLE_1)
	s_or_b32 exec_lo, exec_lo, s16
                                        ; implicit-def: $vgpr2
.LBB2_122:                              ;   in Loop: Header=BB2_34 Depth=2
	s_and_not1_saveexec_b32 s15, s15
	s_cbranch_execz .LBB2_180
; %bb.123:                              ;   in Loop: Header=BB2_34 Depth=2
	s_mov_b32 s10, exec_lo
	v_cmpx_lt_i32_e32 21, v2
	s_xor_b32 s16, exec_lo, s10
	s_cbranch_execz .LBB2_161
; %bb.124:                              ;   in Loop: Header=BB2_34 Depth=2
	s_mov_b32 s10, exec_lo
	v_cmpx_lt_i32_e32 27, v2
	s_xor_b32 s17, exec_lo, s10
	;; [unrolled: 5-line block ×4, first 2 shown]
	s_cbranch_execz .LBB2_138
; %bb.127:                              ;   in Loop: Header=BB2_34 Depth=2
	s_mov_b32 s22, exec_lo
	v_cmpx_eq_u32_e32 31, v2
	s_cbranch_execz .LBB2_137
; %bb.128:                              ;   in Loop: Header=BB2_34 Depth=2
	global_load_b32 v3, v[24:25], off
	scratch_load_b64 v[4:5], off, off offset:84 ; 8-byte Folded Reload
                                        ; implicit-def: $vgpr6
	s_wait_loadcnt 0x1
	v_add_f32_e32 v3, v3, v3
	s_wait_loadcnt 0x0
	global_load_b32 v2, v[4:5], off
	v_mul_f32_e32 v88, 0x40490fdb, v3
	s_delay_alu instid0(VALU_DEP_1) | instskip(NEXT) | instid1(VALU_DEP_1)
	v_and_b32_e32 v89, 0x7fffffff, v88
	v_lshrrev_b32_e32 v3, 23, v89
	v_cmp_ngt_f32_e64 s12, 0x48000000, |v88|
	v_and_or_b32 v28, v89, s49, 0x800000
	s_delay_alu instid0(VALU_DEP_3) | instskip(SKIP_2) | instid1(SALU_CYCLE_1)
	v_add_nc_u32_e32 v7, 0xffffff88, v3
                                        ; implicit-def: $vgpr3
	s_wait_xcnt 0x0
	s_and_saveexec_b32 s10, s12
	s_xor_b32 s23, exec_lo, s10
	s_cbranch_execz .LBB2_130
; %bb.129:                              ;   in Loop: Header=BB2_34 Depth=2
	v_mul_u64_e32 v[4:5], s[34:35], v[28:29]
	v_mov_b32_e32 v43, v29
	v_cmp_lt_u32_e32 vcc_lo, 63, v7
	v_mov_b32_e32 v95, v29
	v_cndmask_b32_e64 v3, 0, 0xffffffc0, vcc_lo
	s_delay_alu instid0(VALU_DEP_1) | instskip(NEXT) | instid1(VALU_DEP_1)
	v_add_nc_u32_e32 v3, v3, v7
	v_cmp_lt_u32_e64 s10, 31, v3
	v_mov_b32_e32 v42, v5
	s_delay_alu instid0(VALU_DEP_2) | instskip(NEXT) | instid1(VALU_DEP_2)
	v_cndmask_b32_e64 v5, 0, 0xffffffe0, s10
	v_mad_nc_u64_u32 v[42:43], 0x3c439041, v28, v[42:43]
	s_delay_alu instid0(VALU_DEP_1) | instskip(NEXT) | instid1(VALU_DEP_1)
	v_dual_mov_b32 v49, v29 :: v_dual_mov_b32 v48, v43
	v_mad_nc_u64_u32 v[48:49], 0xdb629599, v28, v[48:49]
	s_delay_alu instid0(VALU_DEP_1) | instskip(NEXT) | instid1(VALU_DEP_2)
	v_dual_mov_b32 v83, v29 :: v_dual_mov_b32 v82, v49
	v_cndmask_b32_e32 v4, v48, v4, vcc_lo
	s_delay_alu instid0(VALU_DEP_2) | instskip(NEXT) | instid1(VALU_DEP_1)
	v_mad_nc_u64_u32 v[82:83], 0xf534ddc0, v28, v[82:83]
	v_dual_mov_b32 v91, v29 :: v_dual_mov_b32 v90, v83
	s_delay_alu instid0(VALU_DEP_1) | instskip(NEXT) | instid1(VALU_DEP_1)
	v_mad_nc_u64_u32 v[90:91], 0xfc2757d1, v28, v[90:91]
	v_dual_mov_b32 v93, v29 :: v_dual_mov_b32 v92, v91
	s_delay_alu instid0(VALU_DEP_1) | instskip(NEXT) | instid1(VALU_DEP_1)
	v_mad_nc_u64_u32 v[92:93], 0x4e441529, v28, v[92:93]
	v_dual_mov_b32 v94, v93 :: v_dual_cndmask_b32 v6, v92, v82, vcc_lo
	s_delay_alu instid0(VALU_DEP_1) | instskip(NEXT) | instid1(VALU_DEP_1)
	v_mad_nc_u64_u32 v[94:95], 0xa2f9836e, v28, v[94:95]
	v_dual_add_nc_u32 v3, v5, v3 :: v_dual_cndmask_b32 v43, v94, v90, vcc_lo
	s_delay_alu instid0(VALU_DEP_1) | instskip(SKIP_1) | instid1(VALU_DEP_2)
	v_cmp_lt_u32_e64 s11, 31, v3
	v_cndmask_b32_e32 v83, v90, v48, vcc_lo
	v_cndmask_b32_e64 v5, 0, 0xffffffe0, s11
	s_delay_alu instid0(VALU_DEP_1) | instskip(SKIP_1) | instid1(VALU_DEP_2)
	v_dual_cndmask_b32 v49, v95, v92, vcc_lo :: v_dual_add_nc_u32 v3, v5, v3
	v_cndmask_b32_e32 v5, v82, v42, vcc_lo
	v_dual_cndmask_b32 v42, v43, v6, s10 :: v_dual_cndmask_b32 v43, v49, v43, s10
	v_cndmask_b32_e64 v6, v6, v83, s10
	s_delay_alu instid0(VALU_DEP_3) | instskip(SKIP_1) | instid1(VALU_DEP_4)
	v_dual_sub_nc_u32 v49, 32, v3 :: v_dual_cndmask_b32 v82, v83, v5, s10
	v_cmp_eq_u32_e32 vcc_lo, 0, v3
	v_cndmask_b32_e64 v43, v43, v42, s11
	s_delay_alu instid0(VALU_DEP_4) | instskip(NEXT) | instid1(VALU_DEP_1)
	v_cndmask_b32_e64 v42, v42, v6, s11
	v_alignbit_b32 v83, v43, v42, v49
	s_delay_alu instid0(VALU_DEP_1) | instskip(NEXT) | instid1(VALU_DEP_1)
	v_dual_cndmask_b32 v6, v6, v82, s11 :: v_dual_cndmask_b32 v3, v83, v43, vcc_lo
	v_alignbit_b32 v48, v42, v6, v49
	s_delay_alu instid0(VALU_DEP_1) | instskip(NEXT) | instid1(VALU_DEP_3)
	v_dual_cndmask_b32 v4, v5, v4, s10 :: v_dual_cndmask_b32 v5, v48, v42, vcc_lo
	v_bfe_u32 v42, v3, 29, 1
	s_delay_alu instid0(VALU_DEP_2) | instskip(NEXT) | instid1(VALU_DEP_3)
	v_cndmask_b32_e64 v4, v82, v4, s11
	v_alignbit_b32 v43, v3, v5, 30
	s_delay_alu instid0(VALU_DEP_3) | instskip(NEXT) | instid1(VALU_DEP_3)
	v_sub_nc_u32_e32 v48, 0, v42
	v_alignbit_b32 v49, v6, v4, v49
	s_delay_alu instid0(VALU_DEP_1) | instskip(NEXT) | instid1(VALU_DEP_1)
	v_dual_cndmask_b32 v6, v49, v6, vcc_lo :: v_dual_bitop2_b32 v43, v43, v48 bitop3:0x14
	v_clz_i32_u32_e32 v49, v43
	s_delay_alu instid0(VALU_DEP_2) | instskip(SKIP_1) | instid1(VALU_DEP_3)
	v_alignbit_b32 v5, v5, v6, 30
	v_alignbit_b32 v4, v6, v4, 30
	v_min_u32_e32 v49, 32, v49
	s_delay_alu instid0(VALU_DEP_3) | instskip(NEXT) | instid1(VALU_DEP_3)
	v_xor_b32_e32 v5, v5, v48
	v_dual_lshrrev_b32 v48, 29, v3 :: v_dual_bitop2_b32 v4, v4, v48 bitop3:0x14
	s_delay_alu instid0(VALU_DEP_3) | instskip(NEXT) | instid1(VALU_DEP_1)
	v_dual_sub_nc_u32 v6, 31, v49 :: v_dual_lshlrev_b32 v82, 23, v49
	v_alignbit_b32 v43, v43, v5, v6
	s_delay_alu instid0(VALU_DEP_3) | instskip(NEXT) | instid1(VALU_DEP_4)
	v_alignbit_b32 v4, v5, v4, v6
	v_lshlrev_b32_e32 v5, 31, v48
	s_delay_alu instid0(VALU_DEP_2) | instskip(NEXT) | instid1(VALU_DEP_2)
	v_alignbit_b32 v6, v43, v4, 9
	v_dual_lshrrev_b32 v43, 9, v43 :: v_dual_bitop2_b32 v48, 0.5, v5 bitop3:0x54
	v_or_b32_e32 v5, 0x33000000, v5
	s_delay_alu instid0(VALU_DEP_3) | instskip(NEXT) | instid1(VALU_DEP_3)
	v_clz_i32_u32_e32 v83, v6
	v_sub_nc_u32_e32 v48, v48, v82
	s_delay_alu instid0(VALU_DEP_2) | instskip(NEXT) | instid1(VALU_DEP_1)
	v_min_u32_e32 v82, 32, v83
	v_add_lshl_u32 v49, v82, v49, 23
	s_delay_alu instid0(VALU_DEP_3) | instskip(SKIP_1) | instid1(VALU_DEP_3)
	v_or_b32_e32 v43, v43, v48
	v_not_b32_e32 v48, v82
	v_sub_nc_u32_e32 v5, v5, v49
	s_delay_alu instid0(VALU_DEP_3) | instskip(NEXT) | instid1(VALU_DEP_3)
	v_mul_f32_e32 v83, 0x3fc90fda, v43
	v_alignbit_b32 v4, v6, v4, v48
	s_delay_alu instid0(VALU_DEP_2) | instskip(NEXT) | instid1(VALU_DEP_2)
	v_fma_f32 v6, 0x3fc90fda, v43, -v83
	v_lshrrev_b32_e32 v4, 9, v4
	s_delay_alu instid0(VALU_DEP_2) | instskip(NEXT) | instid1(VALU_DEP_2)
	v_fmac_f32_e32 v6, 0x33a22168, v43
	v_or_b32_e32 v4, v5, v4
	s_delay_alu instid0(VALU_DEP_1) | instskip(NEXT) | instid1(VALU_DEP_1)
	v_fmac_f32_e32 v6, 0x3fc90fda, v4
	v_dual_add_f32 v3, v83, v6 :: v_dual_lshrrev_b32 v4, 30, v3
	s_delay_alu instid0(VALU_DEP_1)
	v_add_nc_u32_e32 v6, v42, v4
.LBB2_130:                              ;   in Loop: Header=BB2_34 Depth=2
	s_or_saveexec_b32 s10, s23
	v_mul_f32_e64 v4, 0x3f22f983, |v88|
	s_delay_alu instid0(VALU_DEP_1)
	v_rndne_f32_e32 v82, v4
	s_xor_b32 exec_lo, exec_lo, s10
; %bb.131:                              ;   in Loop: Header=BB2_34 Depth=2
	s_delay_alu instid0(VALU_DEP_1) | instskip(SKIP_1) | instid1(VALU_DEP_2)
	v_fma_f32 v3, 0xbfc90fda, v82, |v88|
	v_cvt_i32_f32_e32 v6, v82
	v_fmac_f32_e32 v3, 0xb3a22168, v82
	s_delay_alu instid0(VALU_DEP_1)
	v_fmac_f32_e32 v3, 0xa7c234c4, v82
; %bb.132:                              ;   in Loop: Header=BB2_34 Depth=2
	s_or_b32 exec_lo, exec_lo, s10
                                        ; implicit-def: $vgpr42
                                        ; implicit-def: $vgpr43
	s_and_saveexec_b32 s10, s12
	s_delay_alu instid0(SALU_CYCLE_1)
	s_xor_b32 s23, exec_lo, s10
	s_cbranch_execz .LBB2_134
; %bb.133:                              ;   in Loop: Header=BB2_34 Depth=2
	v_mul_u64_e32 v[82:83], s[34:35], v[28:29]
	v_mov_b32_e32 v5, v29
	v_cmp_lt_u32_e32 vcc_lo, 63, v7
	s_delay_alu instid0(VALU_DEP_3) | instskip(NEXT) | instid1(VALU_DEP_1)
	v_mov_b32_e32 v4, v83
	v_mad_nc_u64_u32 v[4:5], 0x3c439041, v28, v[4:5]
	s_delay_alu instid0(VALU_DEP_1) | instskip(SKIP_1) | instid1(VALU_DEP_2)
	v_dual_mov_b32 v43, v29 :: v_dual_mov_b32 v42, v5
	v_cndmask_b32_e64 v5, 0, 0xffffffc0, vcc_lo
	v_mad_nc_u64_u32 v[42:43], 0xdb629599, v28, v[42:43]
	s_delay_alu instid0(VALU_DEP_1) | instskip(NEXT) | instid1(VALU_DEP_1)
	v_dual_mov_b32 v49, v29 :: v_dual_mov_b32 v48, v43
	v_mad_nc_u64_u32 v[48:49], 0xf534ddc0, v28, v[48:49]
	s_delay_alu instid0(VALU_DEP_1) | instskip(NEXT) | instid1(VALU_DEP_2)
	v_dual_mov_b32 v91, v29 :: v_dual_mov_b32 v90, v49
	v_cndmask_b32_e32 v4, v48, v4, vcc_lo
	s_delay_alu instid0(VALU_DEP_2) | instskip(NEXT) | instid1(VALU_DEP_1)
	v_mad_nc_u64_u32 v[90:91], 0xfc2757d1, v28, v[90:91]
	v_dual_mov_b32 v93, v29 :: v_dual_mov_b32 v92, v91
	s_delay_alu instid0(VALU_DEP_2) | instskip(SKIP_1) | instid1(VALU_DEP_3)
	v_cndmask_b32_e32 v83, v90, v42, vcc_lo
	v_cndmask_b32_e32 v42, v42, v82, vcc_lo
	v_mad_nc_u64_u32 v[92:93], 0x4e441529, v28, v[92:93]
	v_add_nc_u32_e32 v5, v5, v7
	s_delay_alu instid0(VALU_DEP_2) | instskip(NEXT) | instid1(VALU_DEP_1)
	v_dual_mov_b32 v95, v29 :: v_dual_mov_b32 v94, v93
	v_mad_nc_u64_u32 v[94:95], 0xa2f9836e, v28, v[94:95]
	s_delay_alu instid0(VALU_DEP_4) | instskip(NEXT) | instid1(VALU_DEP_4)
	v_cndmask_b32_e32 v28, v92, v48, vcc_lo
	v_cmp_lt_u32_e64 s10, 31, v5
	s_delay_alu instid0(VALU_DEP_1) | instskip(NEXT) | instid1(VALU_DEP_1)
	v_cndmask_b32_e64 v7, 0, 0xffffffe0, s10
	v_dual_cndmask_b32 v43, v94, v90, vcc_lo :: v_dual_add_nc_u32 v5, v7, v5
	v_cndmask_b32_e32 v49, v95, v92, vcc_lo
	s_delay_alu instid0(VALU_DEP_2) | instskip(NEXT) | instid1(VALU_DEP_1)
	v_cmp_lt_u32_e64 s11, 31, v5
	v_cndmask_b32_e64 v7, 0, 0xffffffe0, s11
	s_delay_alu instid0(VALU_DEP_1) | instskip(NEXT) | instid1(VALU_DEP_4)
	v_add_nc_u32_e32 v5, v7, v5
	v_dual_cndmask_b32 v7, v43, v28, s10 :: v_dual_cndmask_b32 v43, v49, v43, s10
	v_dual_cndmask_b32 v28, v28, v83, s10 :: v_dual_cndmask_b32 v49, v83, v4, s10
	s_delay_alu instid0(VALU_DEP_3) | instskip(SKIP_1) | instid1(VALU_DEP_3)
	v_sub_nc_u32_e32 v48, 32, v5
	v_cmp_eq_u32_e64 s12, 0, v5
	v_dual_cndmask_b32 v43, v43, v7, s11 :: v_dual_cndmask_b32 v5, v28, v49, s11
	v_cndmask_b32_e64 v7, v7, v28, s11
	s_delay_alu instid0(VALU_DEP_1) | instskip(NEXT) | instid1(VALU_DEP_1)
	v_alignbit_b32 v28, v43, v7, v48
	v_cndmask_b32_e64 v28, v28, v43, s12
	s_delay_alu instid0(VALU_DEP_4) | instskip(SKIP_1) | instid1(VALU_DEP_3)
	v_alignbit_b32 v82, v7, v5, v48
	v_cndmask_b32_e64 v4, v4, v42, s10
	v_bfe_u32 v42, v28, 29, 1
	s_delay_alu instid0(VALU_DEP_2) | instskip(NEXT) | instid1(VALU_DEP_2)
	v_dual_cndmask_b32 v7, v82, v7, s12 :: v_dual_cndmask_b32 v4, v49, v4, s11
	v_sub_nc_u32_e32 v49, 0, v42
	s_delay_alu instid0(VALU_DEP_2) | instskip(NEXT) | instid1(VALU_DEP_3)
	v_alignbit_b32 v43, v28, v7, 30
	v_alignbit_b32 v48, v5, v4, v48
	s_delay_alu instid0(VALU_DEP_2) | instskip(NEXT) | instid1(VALU_DEP_2)
	v_xor_b32_e32 v43, v43, v49
	v_cndmask_b32_e64 v5, v48, v5, s12
	s_delay_alu instid0(VALU_DEP_2) | instskip(NEXT) | instid1(VALU_DEP_2)
	v_clz_i32_u32_e32 v48, v43
	v_alignbit_b32 v7, v7, v5, 30
	v_alignbit_b32 v4, v5, v4, 30
	s_delay_alu instid0(VALU_DEP_3) | instskip(NEXT) | instid1(VALU_DEP_3)
	v_min_u32_e32 v48, 32, v48
	v_xor_b32_e32 v5, v7, v49
	s_delay_alu instid0(VALU_DEP_3) | instskip(NEXT) | instid1(VALU_DEP_3)
	v_dual_lshrrev_b32 v49, 29, v28 :: v_dual_bitop2_b32 v4, v4, v49 bitop3:0x14
	v_dual_sub_nc_u32 v7, 31, v48 :: v_dual_lshlrev_b32 v82, 23, v48
	s_delay_alu instid0(VALU_DEP_1) | instskip(NEXT) | instid1(VALU_DEP_3)
	v_alignbit_b32 v43, v43, v5, v7
	v_alignbit_b32 v4, v5, v4, v7
	s_delay_alu instid0(VALU_DEP_4) | instskip(NEXT) | instid1(VALU_DEP_2)
	v_lshlrev_b32_e32 v5, 31, v49
	v_alignbit_b32 v7, v43, v4, 9
	s_delay_alu instid0(VALU_DEP_2) | instskip(SKIP_1) | instid1(VALU_DEP_3)
	v_dual_lshrrev_b32 v43, 9, v43 :: v_dual_bitop2_b32 v49, 0.5, v5 bitop3:0x54
	v_or_b32_e32 v5, 0x33000000, v5
	v_clz_i32_u32_e32 v83, v7
	s_delay_alu instid0(VALU_DEP_3) | instskip(NEXT) | instid1(VALU_DEP_2)
	v_sub_nc_u32_e32 v49, v49, v82
	v_min_u32_e32 v82, 32, v83
	s_delay_alu instid0(VALU_DEP_1) | instskip(NEXT) | instid1(VALU_DEP_3)
	v_add_lshl_u32 v48, v82, v48, 23
	v_or_b32_e32 v43, v43, v49
	v_not_b32_e32 v49, v82
                                        ; implicit-def: $vgpr82
	s_delay_alu instid0(VALU_DEP_3) | instskip(NEXT) | instid1(VALU_DEP_3)
	v_sub_nc_u32_e32 v5, v5, v48
	v_mul_f32_e32 v83, 0x3fc90fda, v43
	s_delay_alu instid0(VALU_DEP_3) | instskip(NEXT) | instid1(VALU_DEP_2)
	v_alignbit_b32 v4, v7, v4, v49
	v_fma_f32 v7, 0x3fc90fda, v43, -v83
	s_delay_alu instid0(VALU_DEP_1) | instskip(NEXT) | instid1(VALU_DEP_1)
	v_dual_fmac_f32 v7, 0x33a22168, v43 :: v_dual_lshrrev_b32 v4, 9, v4
	v_or_b32_e32 v4, v5, v4
	s_delay_alu instid0(VALU_DEP_1) | instskip(NEXT) | instid1(VALU_DEP_1)
	v_fmac_f32_e32 v7, 0x3fc90fda, v4
	v_dual_add_f32 v43, v83, v7 :: v_dual_lshrrev_b32 v4, 30, v28
	s_delay_alu instid0(VALU_DEP_1)
	v_add_nc_u32_e32 v42, v42, v4
	s_and_not1_saveexec_b32 s10, s23
	s_cbranch_execnz .LBB2_135
	s_branch .LBB2_136
.LBB2_134:                              ;   in Loop: Header=BB2_34 Depth=2
	s_and_not1_saveexec_b32 s10, s23
.LBB2_135:                              ;   in Loop: Header=BB2_34 Depth=2
	v_fma_f32 v43, 0xbfc90fda, v82, |v88|
	v_cvt_i32_f32_e32 v42, v82
	s_delay_alu instid0(VALU_DEP_2) | instskip(NEXT) | instid1(VALU_DEP_1)
	v_fmac_f32_e32 v43, 0xb3a22168, v82
	v_fmac_f32_e32 v43, 0xa7c234c4, v82
.LBB2_136:                              ;   in Loop: Header=BB2_34 Depth=2
	s_or_b32 exec_lo, exec_lo, s10
	s_wait_loadcnt 0x0
	v_dual_mul_f32 v4, v80, v2 :: v_dual_mul_f32 v5, v3, v3
	s_delay_alu instid0(VALU_DEP_1) | instskip(NEXT) | instid1(VALU_DEP_1)
	v_dual_mul_f32 v2, v81, v2 :: v_dual_fmaak_f32 v7, s54, v5, 0x3c0881c4
	v_fmaak_f32 v7, v5, v7, 0xbe2aaa9d
	s_delay_alu instid0(VALU_DEP_1) | instskip(NEXT) | instid1(VALU_DEP_1)
	v_mul_f32_e32 v7, v5, v7
	v_fmac_f32_e32 v3, v3, v7
	v_fmaak_f32 v7, s56, v5, 0xbab64f3b
	s_delay_alu instid0(VALU_DEP_1) | instskip(NEXT) | instid1(VALU_DEP_1)
	v_fmaak_f32 v7, v5, v7, 0x3d2aabf7
	v_fmaak_f32 v7, v5, v7, 0xbf000004
	s_delay_alu instid0(VALU_DEP_1) | instskip(SKIP_1) | instid1(VALU_DEP_1)
	v_fma_f32 v5, v5, v7, 1.0
	v_and_b32_e32 v7, 1, v6
	v_cmp_eq_u32_e32 vcc_lo, 0, v7
	s_delay_alu instid0(VALU_DEP_3) | instskip(SKIP_1) | instid1(VALU_DEP_2)
	v_dual_cndmask_b32 v3, -v3, v5, vcc_lo :: v_dual_lshlrev_b32 v5, 30, v6
	v_cmp_class_f32_e64 vcc_lo, v88, 0x1f8
	v_bitop3_b32 v3, v5, v3, 0x80000000 bitop3:0x6c
	v_xor_b32_e32 v5, v89, v88
	s_delay_alu instid0(VALU_DEP_2) | instskip(NEXT) | instid1(VALU_DEP_1)
	v_cndmask_b32_e32 v3, 0x7fc00000, v3, vcc_lo
	v_mul_f32_e32 v80, v4, v3
	v_mul_f32_e32 v3, v43, v43
	s_delay_alu instid0(VALU_DEP_1) | instskip(NEXT) | instid1(VALU_DEP_1)
	v_fmaak_f32 v4, s54, v3, 0x3c0881c4
	v_fmaak_f32 v4, v3, v4, 0xbe2aaa9d
	s_delay_alu instid0(VALU_DEP_1) | instskip(NEXT) | instid1(VALU_DEP_1)
	v_mul_f32_e32 v4, v3, v4
	v_dual_fmac_f32 v43, v43, v4 :: v_dual_fmaak_f32 v4, s56, v3, 0xbab64f3b
	s_delay_alu instid0(VALU_DEP_1) | instskip(NEXT) | instid1(VALU_DEP_1)
	v_fmaak_f32 v4, v3, v4, 0x3d2aabf7
	v_fmaak_f32 v4, v3, v4, 0xbf000004
	s_delay_alu instid0(VALU_DEP_1) | instskip(SKIP_1) | instid1(VALU_DEP_1)
	v_fma_f32 v3, v3, v4, 1.0
	v_and_b32_e32 v4, 1, v42
	v_cmp_eq_u32_e64 s10, 0, v4
	s_delay_alu instid0(VALU_DEP_1) | instskip(NEXT) | instid1(VALU_DEP_1)
	v_dual_lshlrev_b32 v4, 30, v42 :: v_dual_cndmask_b32 v3, v3, v43, s10
	v_and_b32_e32 v4, 0x80000000, v4
	s_delay_alu instid0(VALU_DEP_1) | instskip(NEXT) | instid1(VALU_DEP_1)
	v_xor3_b32 v3, v5, v4, v3
	v_cndmask_b32_e32 v3, 0x7fc00000, v3, vcc_lo
	s_delay_alu instid0(VALU_DEP_1)
	v_mul_f32_e32 v81, v2, v3
.LBB2_137:                              ;   in Loop: Header=BB2_34 Depth=2
	s_or_b32 exec_lo, exec_lo, s22
                                        ; implicit-def: $vgpr2
.LBB2_138:                              ;   in Loop: Header=BB2_34 Depth=2
	s_and_not1_saveexec_b32 s10, s21
	s_cbranch_execz .LBB2_142
; %bb.139:                              ;   in Loop: Header=BB2_34 Depth=2
	s_mov_b32 s11, exec_lo
	v_cmpx_eq_u32_e32 29, v2
	s_cbranch_execz .LBB2_141
; %bb.140:                              ;   in Loop: Header=BB2_34 Depth=2
	s_wait_loadcnt 0x0
	v_dual_mov_b32 v81, v39 :: v_dual_mov_b32 v80, v116
.LBB2_141:                              ;   in Loop: Header=BB2_34 Depth=2
	s_or_b32 exec_lo, exec_lo, s11
.LBB2_142:                              ;   in Loop: Header=BB2_34 Depth=2
	s_delay_alu instid0(SALU_CYCLE_1)
	s_or_b32 exec_lo, exec_lo, s10
.LBB2_143:                              ;   in Loop: Header=BB2_34 Depth=2
	s_and_not1_saveexec_b32 s10, s18
	s_cbranch_execz .LBB2_145
; %bb.144:                              ;   in Loop: Header=BB2_34 Depth=2
	s_wait_loadcnt 0x0
	v_dual_mov_b32 v81, v45 :: v_dual_mov_b32 v80, v44
.LBB2_145:                              ;   in Loop: Header=BB2_34 Depth=2
	s_or_b32 exec_lo, exec_lo, s10
                                        ; implicit-def: $vgpr2
.LBB2_146:                              ;   in Loop: Header=BB2_34 Depth=2
	s_and_not1_saveexec_b32 s11, s17
	s_cbranch_execz .LBB2_160
; %bb.147:                              ;   in Loop: Header=BB2_34 Depth=2
	s_mov_b32 s10, exec_lo
	v_cmpx_lt_i32_e32 26, v2
	s_xor_b32 s10, exec_lo, s10
; %bb.148:                              ;   in Loop: Header=BB2_34 Depth=2
                                        ; implicit-def: $vgpr81
                                        ; implicit-def: $vgpr2
; %bb.149:                              ;   in Loop: Header=BB2_34 Depth=2
	s_delay_alu instid0(SALU_CYCLE_1)
	s_or_saveexec_b32 s12, s10
	v_dual_mov_b32 v3, v47 :: v_dual_mov_b32 v4, v46
	s_xor_b32 exec_lo, exec_lo, s12
	s_cbranch_execz .LBB2_159
; %bb.150:                              ;   in Loop: Header=BB2_34 Depth=2
	s_mov_b32 s17, exec_lo
	v_cmpx_eq_u32_e32 22, v2
	s_cbranch_execz .LBB2_158
; %bb.151:                              ;   in Loop: Header=BB2_34 Depth=2
	v_mov_b32_e32 v2, v123
	s_and_saveexec_b32 s10, s19
	s_cbranch_execz .LBB2_157
; %bb.152:                              ;   in Loop: Header=BB2_34 Depth=2
	v_dual_mov_b32 v2, v124 :: v_dual_mov_b32 v3, v125
	s_and_saveexec_b32 s18, s6
	s_cbranch_execz .LBB2_156
; %bb.153:                              ;   in Loop: Header=BB2_34 Depth=2
	v_dual_mov_b32 v2, v124 :: v_dual_mov_b32 v3, v125
	s_mov_b32 s21, 0
.LBB2_154:                              ;   Parent Loop BB2_2 Depth=1
                                        ;     Parent Loop BB2_34 Depth=2
                                        ; =>    This Inner Loop Header: Depth=3
	s_delay_alu instid0(VALU_DEP_1) | instskip(NEXT) | instid1(VALU_DEP_1)
	v_mul_f32_e32 v4, v112, v2
	v_rndne_f32_e32 v4, v4
	s_delay_alu instid0(VALU_DEP_1) | instskip(NEXT) | instid1(VALU_DEP_1)
	v_fma_f32 v2, -v4, v103, v2
	v_add_f32_e32 v4, v103, v2
	v_cmp_gt_f32_e32 vcc_lo, 0, v2
	s_delay_alu instid0(VALU_DEP_2) | instskip(SKIP_2) | instid1(VALU_DEP_3)
	v_cndmask_b32_e32 v2, v2, v4, vcc_lo
	v_cmp_gt_u32_e32 vcc_lo, 25, v3
	v_add_nc_u32_e32 v3, -12, v3
	v_ldexp_f32 v2, v2, 12
	s_or_b32 s21, vcc_lo, s21
	s_delay_alu instid0(SALU_CYCLE_1)
	s_and_not1_b32 exec_lo, exec_lo, s21
	s_cbranch_execnz .LBB2_154
; %bb.155:                              ;   in Loop: Header=BB2_34 Depth=2
	s_or_b32 exec_lo, exec_lo, s21
.LBB2_156:                              ;   in Loop: Header=BB2_34 Depth=2
	s_delay_alu instid0(SALU_CYCLE_1) | instskip(NEXT) | instid1(VALU_DEP_1)
	s_or_b32 exec_lo, exec_lo, s18
	v_add_nc_u32_e32 v3, -11, v3
	s_delay_alu instid0(VALU_DEP_1) | instskip(NEXT) | instid1(VALU_DEP_1)
	v_ldexp_f32 v2, v2, v3
	v_mul_f32_e32 v3, v112, v2
	s_delay_alu instid0(VALU_DEP_1) | instskip(NEXT) | instid1(VALU_DEP_1)
	v_rndne_f32_e32 v3, v3
	v_fma_f32 v2, -v3, v103, v2
	s_delay_alu instid0(VALU_DEP_1) | instskip(SKIP_1) | instid1(VALU_DEP_2)
	v_add_f32_e32 v3, v103, v2
	v_cmp_gt_f32_e32 vcc_lo, 0, v2
	v_cndmask_b32_e32 v2, v2, v3, vcc_lo
	scratch_load_b32 v3, off, off offset:16 ; 4-byte Folded Reload
	s_wait_loadcnt 0x0
	v_add_nc_u32_e32 v3, -1, v3
	s_delay_alu instid0(VALU_DEP_1) | instskip(NEXT) | instid1(VALU_DEP_1)
	v_ldexp_f32 v2, v2, v3
	v_xor_b32_e32 v2, v126, v2
.LBB2_157:                              ;   in Loop: Header=BB2_34 Depth=2
	s_wait_xcnt 0x0
	s_or_b32 exec_lo, exec_lo, s10
	s_delay_alu instid0(VALU_DEP_1) | instskip(SKIP_1) | instid1(VALU_DEP_2)
	v_cndmask_b32_e64 v2, v2, 0x7fc00000, s0
	v_mul_f32_e32 v3, 0.5, v9
	v_cndmask_b32_e64 v2, 0x7fc00000, v2, s7
	s_delay_alu instid0(VALU_DEP_1) | instskip(SKIP_4) | instid1(VALU_DEP_3)
	v_cmp_gt_f32_e32 vcc_lo, v2, v3
	v_cndmask_b32_e64 v2, 0, 1, s5
	v_cndmask_b32_e64 v3, 0, 1, s4
	v_dual_cndmask_b32 v5, v22, v35 :: v_dual_cndmask_b32 v6, v19, v34
	v_cndmask_b32_e32 v4, v23, v32, vcc_lo
	v_dual_cndmask_b32 v2, v3, v2 :: v_dual_cndmask_b32 v3, v74, v121
	v_cndmask_b32_e32 v7, v18, v106, vcc_lo
	s_delay_alu instid0(VALU_DEP_4) | instskip(SKIP_1) | instid1(VALU_DEP_4)
	v_cmp_eq_u32_e64 s10, 0, v5
	v_cndmask_b32_e32 v5, v120, v122, vcc_lo
	v_and_b32_e32 v2, 1, v2
	v_xor_b32_e32 v3, v4, v3
	s_delay_alu instid0(VALU_DEP_4) | instskip(NEXT) | instid1(VALU_DEP_3)
	v_cndmask_b32_e64 v4, v6, v7, s10
	v_cmp_eq_u32_e64 s10, 1, v2
	s_delay_alu instid0(VALU_DEP_2) | instskip(NEXT) | instid1(VALU_DEP_1)
	v_xor3_b32 v2, v3, v5, v4
	v_cndmask_b32_e64 v3, 0x7fc00000, v2, s10
	v_cndmask_b32_e32 v2, v0, v12, vcc_lo
	s_wait_loadcnt 0x0
	s_delay_alu instid0(VALU_DEP_1)
	v_pk_mul_f32 v[80:81], v[40:41], v[2:3]
.LBB2_158:                              ;   in Loop: Header=BB2_34 Depth=2
	s_or_b32 exec_lo, exec_lo, s17
	s_wait_loadcnt 0x0
	s_delay_alu instid0(VALU_DEP_1)
	v_dual_mov_b32 v3, v81 :: v_dual_mov_b32 v4, v80
.LBB2_159:                              ;   in Loop: Header=BB2_34 Depth=2
	s_or_b32 exec_lo, exec_lo, s12
	s_wait_loadcnt 0x0
	s_delay_alu instid0(VALU_DEP_1)
	v_dual_mov_b32 v81, v3 :: v_dual_mov_b32 v80, v4
.LBB2_160:                              ;   in Loop: Header=BB2_34 Depth=2
	s_or_b32 exec_lo, exec_lo, s11
                                        ; implicit-def: $vgpr2
.LBB2_161:                              ;   in Loop: Header=BB2_34 Depth=2
	s_and_not1_saveexec_b32 s10, s16
	s_cbranch_execz .LBB2_179
; %bb.162:                              ;   in Loop: Header=BB2_34 Depth=2
	s_mov_b32 s11, exec_lo
                                        ; implicit-def: $vgpr81
	v_cmpx_lt_i32_e32 19, v2
	s_xor_b32 s11, exec_lo, s11
	s_cbranch_execz .LBB2_174
; %bb.163:                              ;   in Loop: Header=BB2_34 Depth=2
	s_mov_b32 s12, exec_lo
                                        ; implicit-def: $vgpr81
	v_cmpx_lt_i32_e32 20, v2
	s_xor_b32 s12, exec_lo, s12
	s_cbranch_execz .LBB2_171
; %bb.164:                              ;   in Loop: Header=BB2_34 Depth=2
	v_mov_b32_e32 v2, v127
	s_and_saveexec_b32 s16, s20
	s_cbranch_execz .LBB2_170
; %bb.165:                              ;   in Loop: Header=BB2_34 Depth=2
	v_dual_mov_b32 v2, v101 :: v_dual_mov_b32 v3, v102
	s_and_saveexec_b32 s17, s8
	s_cbranch_execz .LBB2_169
; %bb.166:                              ;   in Loop: Header=BB2_34 Depth=2
	v_dual_mov_b32 v2, v101 :: v_dual_mov_b32 v3, v102
	s_mov_b32 s18, 0
.LBB2_167:                              ;   Parent Loop BB2_2 Depth=1
                                        ;     Parent Loop BB2_34 Depth=2
                                        ; =>    This Inner Loop Header: Depth=3
	s_delay_alu instid0(VALU_DEP_1) | instskip(NEXT) | instid1(VALU_DEP_1)
	v_mul_f32_e32 v4, v107, v2
	v_rndne_f32_e32 v4, v4
	s_delay_alu instid0(VALU_DEP_1) | instskip(NEXT) | instid1(VALU_DEP_1)
	v_fma_f32 v2, -v4, v104, v2
	v_add_f32_e32 v4, v104, v2
	v_cmp_gt_f32_e32 vcc_lo, 0, v2
	s_delay_alu instid0(VALU_DEP_2) | instskip(SKIP_2) | instid1(VALU_DEP_3)
	v_cndmask_b32_e32 v2, v2, v4, vcc_lo
	v_cmp_gt_u32_e32 vcc_lo, 25, v3
	v_add_nc_u32_e32 v3, -12, v3
	v_ldexp_f32 v2, v2, 12
	s_or_b32 s18, vcc_lo, s18
	s_delay_alu instid0(SALU_CYCLE_1)
	s_and_not1_b32 exec_lo, exec_lo, s18
	s_cbranch_execnz .LBB2_167
; %bb.168:                              ;   in Loop: Header=BB2_34 Depth=2
	s_or_b32 exec_lo, exec_lo, s18
.LBB2_169:                              ;   in Loop: Header=BB2_34 Depth=2
	s_delay_alu instid0(SALU_CYCLE_1) | instskip(NEXT) | instid1(VALU_DEP_1)
	s_or_b32 exec_lo, exec_lo, s17
	v_add_nc_u32_e32 v3, -11, v3
	s_delay_alu instid0(VALU_DEP_1) | instskip(NEXT) | instid1(VALU_DEP_1)
	v_ldexp_f32 v2, v2, v3
	v_mul_f32_e32 v3, v107, v2
	s_delay_alu instid0(VALU_DEP_1) | instskip(NEXT) | instid1(VALU_DEP_1)
	v_rndne_f32_e32 v3, v3
	v_fma_f32 v2, -v3, v104, v2
	s_delay_alu instid0(VALU_DEP_1) | instskip(SKIP_1) | instid1(VALU_DEP_2)
	v_add_f32_e32 v3, v104, v2
	v_cmp_gt_f32_e32 vcc_lo, 0, v2
	v_cndmask_b32_e32 v2, v2, v3, vcc_lo
	scratch_load_b32 v3, off, off offset:12 ; 4-byte Folded Reload
	s_wait_loadcnt 0x0
	v_add_nc_u32_e32 v3, -1, v3
	s_delay_alu instid0(VALU_DEP_1) | instskip(NEXT) | instid1(VALU_DEP_1)
	v_ldexp_f32 v2, v2, v3
	v_xor_b32_e32 v2, v26, v2
.LBB2_170:                              ;   in Loop: Header=BB2_34 Depth=2
	s_wait_xcnt 0x0
	s_or_b32 exec_lo, exec_lo, s16
	s_delay_alu instid0(VALU_DEP_1) | instskip(NEXT) | instid1(VALU_DEP_1)
	v_cndmask_b32_e64 v2, v2, 0x7fc00000, s2
	v_cndmask_b32_e64 v2, 0x7fc00000, v2, s9
	s_delay_alu instid0(VALU_DEP_1) | instskip(NEXT) | instid1(VALU_DEP_1)
	v_sub_f32_e32 v2, v2, v36
	v_add_f32_e32 v2, v27, v2
	s_wait_loadcnt 0x0
	s_delay_alu instid0(VALU_DEP_1)
	v_pk_mul_f32 v[80:81], v[86:87], v[2:3] op_sel_hi:[1,0]
.LBB2_171:                              ;   in Loop: Header=BB2_34 Depth=2
	s_and_not1_saveexec_b32 s12, s12
	s_cbranch_execz .LBB2_173
; %bb.172:                              ;   in Loop: Header=BB2_34 Depth=2
	s_wait_loadcnt 0x0
	v_dual_mov_b32 v81, v57 :: v_dual_mov_b32 v80, v56
.LBB2_173:                              ;   in Loop: Header=BB2_34 Depth=2
	s_or_b32 exec_lo, exec_lo, s12
                                        ; implicit-def: $vgpr2
.LBB2_174:                              ;   in Loop: Header=BB2_34 Depth=2
	s_and_not1_saveexec_b32 s11, s11
	s_cbranch_execz .LBB2_178
; %bb.175:                              ;   in Loop: Header=BB2_34 Depth=2
	s_mov_b32 s12, exec_lo
	v_cmpx_lt_i32_e32 18, v2
	s_xor_b32 s12, exec_lo, s12
	s_delay_alu instid0(SALU_CYCLE_1)
	s_or_saveexec_b32 s12, s12
	s_wait_loadcnt 0x0
	v_dual_mov_b32 v81, v59 :: v_dual_mov_b32 v80, v58
	s_xor_b32 exec_lo, exec_lo, s12
; %bb.176:                              ;   in Loop: Header=BB2_34 Depth=2
	v_dual_mov_b32 v81, v61 :: v_dual_mov_b32 v80, v60
; %bb.177:                              ;   in Loop: Header=BB2_34 Depth=2
	s_or_b32 exec_lo, exec_lo, s12
.LBB2_178:                              ;   in Loop: Header=BB2_34 Depth=2
	s_delay_alu instid0(SALU_CYCLE_1)
	s_or_b32 exec_lo, exec_lo, s11
.LBB2_179:                              ;   in Loop: Header=BB2_34 Depth=2
	s_delay_alu instid0(SALU_CYCLE_1)
	s_or_b32 exec_lo, exec_lo, s10
.LBB2_180:                              ;   in Loop: Header=BB2_34 Depth=2
	s_delay_alu instid0(SALU_CYCLE_1)
	s_or_b32 exec_lo, exec_lo, s15
                                        ; implicit-def: $vgpr2
.LBB2_181:                              ;   in Loop: Header=BB2_34 Depth=2
	s_and_not1_saveexec_b32 s14, s14
	s_cbranch_execz .LBB2_32
; %bb.182:                              ;   in Loop: Header=BB2_34 Depth=2
                                        ; implicit-def: $vgpr3
                                        ; implicit-def: $vgpr4
	s_mov_b32 s10, exec_lo
	v_cmpx_lt_i32_e32 8, v2
	s_xor_b32 s15, exec_lo, s10
	s_cbranch_execz .LBB2_226
; %bb.183:                              ;   in Loop: Header=BB2_34 Depth=2
                                        ; implicit-def: $vgpr3
                                        ; implicit-def: $vgpr4
	s_mov_b32 s10, exec_lo
	v_cmpx_lt_i32_e32 12, v2
	s_xor_b32 s16, exec_lo, s10
	s_cbranch_execz .LBB2_215
; %bb.184:                              ;   in Loop: Header=BB2_34 Depth=2
	s_mov_b32 s10, exec_lo
                                        ; implicit-def: $vgpr3
                                        ; implicit-def: $vgpr4
	v_cmpx_lt_i32_e32 14, v2
	s_xor_b32 s10, exec_lo, s10
	s_cbranch_execz .LBB2_192
; %bb.185:                              ;   in Loop: Header=BB2_34 Depth=2
	s_mov_b32 s11, exec_lo
                                        ; implicit-def: $vgpr3
                                        ; implicit-def: $vgpr4
	v_cmpx_lt_i32_e32 15, v2
	s_xor_b32 s11, exec_lo, s11
	s_cbranch_execz .LBB2_189
; %bb.186:                              ;   in Loop: Header=BB2_34 Depth=2
	s_mov_b32 s12, exec_lo
	v_cmpx_lt_i32_e32 16, v2
	s_xor_b32 s12, exec_lo, s12
	s_delay_alu instid0(SALU_CYCLE_1)
	s_or_saveexec_b32 s12, s12
	v_dual_mov_b32 v3, v77 :: v_dual_mov_b32 v4, v76
	s_xor_b32 exec_lo, exec_lo, s12
; %bb.187:                              ;   in Loop: Header=BB2_34 Depth=2
	v_dual_mov_b32 v3, v46 :: v_dual_mov_b32 v4, v47
; %bb.188:                              ;   in Loop: Header=BB2_34 Depth=2
	s_or_b32 exec_lo, exec_lo, s12
.LBB2_189:                              ;   in Loop: Header=BB2_34 Depth=2
	s_and_not1_saveexec_b32 s11, s11
; %bb.190:                              ;   in Loop: Header=BB2_34 Depth=2
	v_dual_mov_b32 v3, v85 :: v_dual_mov_b32 v4, v84
; %bb.191:                              ;   in Loop: Header=BB2_34 Depth=2
	s_or_b32 exec_lo, exec_lo, s11
                                        ; implicit-def: $vgpr2
.LBB2_192:                              ;   in Loop: Header=BB2_34 Depth=2
	s_and_not1_saveexec_b32 s17, s10
	s_cbranch_execz .LBB2_214
; %bb.193:                              ;   in Loop: Header=BB2_34 Depth=2
	s_mov_b32 s10, exec_lo
                                        ; implicit-def: $vgpr3
                                        ; implicit-def: $vgpr4
	v_cmpx_lt_i32_e32 13, v2
	s_xor_b32 s10, exec_lo, s10
	s_cbranch_execz .LBB2_203
; %bb.194:                              ;   in Loop: Header=BB2_34 Depth=2
	s_mov_b32 s11, exec_lo
                                        ; implicit-def: $vgpr3
	v_cmpx_lt_i32_e32 1, v110
	s_xor_b32 s11, exec_lo, s11
	s_cbranch_execz .LBB2_198
; %bb.195:                              ;   in Loop: Header=BB2_34 Depth=2
	v_mov_b32_e32 v3, v39
	s_mov_b32 s12, exec_lo
	v_cmpx_gt_i32_e32 3, v110
	s_cbranch_execz .LBB2_197
; %bb.196:                              ;   in Loop: Header=BB2_34 Depth=2
	scratch_load_b64 v[2:3], off, off offset:4 ; 8-byte Folded Reload
.LBB2_197:                              ;   in Loop: Header=BB2_34 Depth=2
	s_wait_xcnt 0x0
	s_or_b32 exec_lo, exec_lo, s12
.LBB2_198:                              ;   in Loop: Header=BB2_34 Depth=2
	s_or_saveexec_b32 s11, s11
	v_mov_b32_e32 v4, v38
	s_xor_b32 exec_lo, exec_lo, s11
	s_cbranch_execz .LBB2_202
; %bb.199:                              ;   in Loop: Header=BB2_34 Depth=2
	s_mov_b32 s12, exec_lo
	v_cmpx_ne_u32_e32 1, v110
	s_xor_b32 s12, exec_lo, s12
	s_delay_alu instid0(SALU_CYCLE_1)
	s_or_saveexec_b32 s12, s12
	s_wait_loadcnt 0x0
	scratch_load_b64 v[2:3], off, off offset:4 ; 8-byte Folded Reload
	s_wait_loadcnt 0x0
	v_mov_b32_e32 v4, v2
	s_wait_xcnt 0x0
	s_xor_b32 exec_lo, exec_lo, s12
; %bb.200:                              ;   in Loop: Header=BB2_34 Depth=2
	v_dual_mov_b32 v3, v39 :: v_dual_mov_b32 v4, v51
; %bb.201:                              ;   in Loop: Header=BB2_34 Depth=2
	s_or_b32 exec_lo, exec_lo, s12
.LBB2_202:                              ;   in Loop: Header=BB2_34 Depth=2
	s_delay_alu instid0(SALU_CYCLE_1)
	s_or_b32 exec_lo, exec_lo, s11
.LBB2_203:                              ;   in Loop: Header=BB2_34 Depth=2
	s_and_not1_saveexec_b32 s18, s10
	s_cbranch_execz .LBB2_213
; %bb.204:                              ;   in Loop: Header=BB2_34 Depth=2
	s_wait_loadcnt 0x0
	global_load_b32 v2, v[24:25], off
	scratch_load_b32 v3, off, off           ; 4-byte Folded Reload
	s_wait_loadcnt 0x1
	v_cmp_lt_f32_e32 vcc_lo, 0.5, v2
	v_cndmask_b32_e64 v2, 0x40490fdb, 0, vcc_lo
	s_wait_loadcnt 0x0
	s_delay_alu instid0(VALU_DEP_1) | instskip(NEXT) | instid1(VALU_DEP_1)
	v_add_f32_e32 v82, v3, v2
                                        ; implicit-def: $vgpr3
	v_and_b32_e32 v83, 0x7fffffff, v82
	s_delay_alu instid0(VALU_DEP_1) | instskip(SKIP_2) | instid1(VALU_DEP_3)
	v_lshrrev_b32_e32 v2, 23, v83
	v_cmp_ngt_f32_e64 s12, 0x48000000, |v82|
	v_and_or_b32 v28, v83, s49, 0x800000
	v_add_nc_u32_e32 v6, 0xffffff88, v2
                                        ; implicit-def: $vgpr2
	s_wait_xcnt 0x0
	s_and_saveexec_b32 s10, s12
	s_delay_alu instid0(SALU_CYCLE_1)
	s_xor_b32 s21, exec_lo, s10
	s_cbranch_execz .LBB2_206
; %bb.205:                              ;   in Loop: Header=BB2_34 Depth=2
	v_mul_u64_e32 v[2:3], s[34:35], v[28:29]
	v_mov_b32_e32 v5, v29
	v_cmp_lt_u32_e32 vcc_lo, 63, v6
	s_delay_alu instid0(VALU_DEP_3) | instskip(SKIP_1) | instid1(VALU_DEP_2)
	v_dual_mov_b32 v91, v29 :: v_dual_mov_b32 v4, v3
	v_cndmask_b32_e64 v3, 0, 0xffffffc0, vcc_lo
	v_mad_nc_u64_u32 v[4:5], 0x3c439041, v28, v[4:5]
	s_delay_alu instid0(VALU_DEP_2) | instskip(NEXT) | instid1(VALU_DEP_1)
	v_dual_mov_b32 v43, v29 :: v_dual_add_nc_u32 v3, v3, v6
	v_cmp_lt_u32_e64 s10, 31, v3
	s_delay_alu instid0(VALU_DEP_3) | instskip(NEXT) | instid1(VALU_DEP_2)
	v_mov_b32_e32 v42, v5
	v_cndmask_b32_e64 v5, 0, 0xffffffe0, s10
	s_delay_alu instid0(VALU_DEP_2) | instskip(NEXT) | instid1(VALU_DEP_1)
	v_mad_nc_u64_u32 v[42:43], 0xdb629599, v28, v[42:43]
	v_dual_mov_b32 v49, v29 :: v_dual_mov_b32 v48, v43
	s_delay_alu instid0(VALU_DEP_1) | instskip(NEXT) | instid1(VALU_DEP_1)
	v_mad_nc_u64_u32 v[48:49], 0xf534ddc0, v28, v[48:49]
	v_dual_mov_b32 v81, v29 :: v_dual_mov_b32 v80, v49
	s_delay_alu instid0(VALU_DEP_2) | instskip(NEXT) | instid1(VALU_DEP_2)
	v_cndmask_b32_e32 v4, v48, v4, vcc_lo
	v_mad_nc_u64_u32 v[80:81], 0xfc2757d1, v28, v[80:81]
	s_delay_alu instid0(VALU_DEP_1) | instskip(NEXT) | instid1(VALU_DEP_1)
	v_dual_mov_b32 v89, v29 :: v_dual_mov_b32 v88, v81
	v_mad_nc_u64_u32 v[88:89], 0x4e441529, v28, v[88:89]
	s_delay_alu instid0(VALU_DEP_1) | instskip(NEXT) | instid1(VALU_DEP_1)
	v_dual_mov_b32 v90, v89 :: v_dual_cndmask_b32 v7, v88, v48
	v_mad_nc_u64_u32 v[90:91], 0xa2f9836e, v28, v[90:91]
	s_delay_alu instid0(VALU_DEP_1) | instskip(NEXT) | instid1(VALU_DEP_1)
	v_dual_add_nc_u32 v3, v5, v3 :: v_dual_cndmask_b32 v43, v90, v80, vcc_lo
	v_cmp_lt_u32_e64 s11, 31, v3
	s_delay_alu instid0(VALU_DEP_3) | instskip(NEXT) | instid1(VALU_DEP_2)
	v_dual_cndmask_b32 v49, v91, v88 :: v_dual_cndmask_b32 v80, v80, v42
	v_cndmask_b32_e64 v5, 0, 0xffffffe0, s11
	s_delay_alu instid0(VALU_DEP_1) | instskip(SKIP_1) | instid1(VALU_DEP_4)
	v_add_nc_u32_e32 v3, v5, v3
	v_cndmask_b32_e64 v5, v43, v7, s10
	v_dual_cndmask_b32 v43, v49, v43, s10 :: v_dual_cndmask_b32 v7, v7, v80, s10
	s_delay_alu instid0(VALU_DEP_3) | instskip(NEXT) | instid1(VALU_DEP_2)
	v_dual_cndmask_b32 v49, v80, v4, s10 :: v_dual_sub_nc_u32 v48, 32, v3
	v_dual_cndmask_b32 v43, v43, v5, s11 :: v_dual_cndmask_b32 v5, v5, v7, s11
	s_delay_alu instid0(VALU_DEP_2) | instskip(NEXT) | instid1(VALU_DEP_2)
	v_cndmask_b32_e64 v7, v7, v49, s11
	v_alignbit_b32 v80, v43, v5, v48
	v_cndmask_b32_e32 v2, v42, v2, vcc_lo
	v_cmp_eq_u32_e32 vcc_lo, 0, v3
	s_delay_alu instid0(VALU_DEP_4) | instskip(NEXT) | instid1(VALU_DEP_4)
	v_alignbit_b32 v42, v5, v7, v48
	v_cndmask_b32_e32 v3, v80, v43, vcc_lo
	s_delay_alu instid0(VALU_DEP_2) | instskip(NEXT) | instid1(VALU_DEP_2)
	v_dual_cndmask_b32 v2, v4, v2, s10 :: v_dual_cndmask_b32 v4, v42, v5, vcc_lo
	v_bfe_u32 v5, v3, 29, 1
	s_delay_alu instid0(VALU_DEP_2) | instskip(NEXT) | instid1(VALU_DEP_3)
	v_cndmask_b32_e64 v2, v49, v2, s11
	v_alignbit_b32 v42, v3, v4, 30
	s_delay_alu instid0(VALU_DEP_3) | instskip(NEXT) | instid1(VALU_DEP_3)
	v_sub_nc_u32_e32 v43, 0, v5
	v_alignbit_b32 v48, v7, v2, v48
	s_delay_alu instid0(VALU_DEP_2) | instskip(NEXT) | instid1(VALU_DEP_2)
	v_xor_b32_e32 v42, v42, v43
	v_cndmask_b32_e32 v7, v48, v7, vcc_lo
	s_delay_alu instid0(VALU_DEP_2) | instskip(NEXT) | instid1(VALU_DEP_2)
	v_clz_i32_u32_e32 v48, v42
	v_alignbit_b32 v4, v4, v7, 30
	v_alignbit_b32 v2, v7, v2, 30
	s_delay_alu instid0(VALU_DEP_3) | instskip(NEXT) | instid1(VALU_DEP_3)
	v_min_u32_e32 v48, 32, v48
	v_xor_b32_e32 v4, v4, v43
	s_delay_alu instid0(VALU_DEP_2) | instskip(SKIP_1) | instid1(VALU_DEP_2)
	v_dual_sub_nc_u32 v7, 31, v48 :: v_dual_bitop2_b32 v2, v2, v43 bitop3:0x14
	v_lshlrev_b32_e32 v49, 23, v48
	v_alignbit_b32 v42, v42, v4, v7
	v_lshrrev_b32_e32 v43, 29, v3
	s_delay_alu instid0(VALU_DEP_4) | instskip(SKIP_1) | instid1(VALU_DEP_2)
	v_alignbit_b32 v2, v4, v2, v7
	v_lshrrev_b32_e32 v3, 30, v3
	v_alignbit_b32 v7, v42, v2, 9
	s_delay_alu instid0(VALU_DEP_4) | instskip(NEXT) | instid1(VALU_DEP_3)
	v_dual_lshrrev_b32 v42, 9, v42 :: v_dual_lshlrev_b32 v4, 31, v43
	v_add_nc_u32_e32 v3, v5, v3
	s_delay_alu instid0(VALU_DEP_3) | instskip(NEXT) | instid1(VALU_DEP_3)
	v_clz_i32_u32_e32 v80, v7
	v_or_b32_e32 v43, 0.5, v4
	v_or_b32_e32 v4, 0x33000000, v4
	s_delay_alu instid0(VALU_DEP_2) | instskip(NEXT) | instid1(VALU_DEP_4)
	v_sub_nc_u32_e32 v43, v43, v49
	v_min_u32_e32 v49, 32, v80
	s_delay_alu instid0(VALU_DEP_1) | instskip(NEXT) | instid1(VALU_DEP_3)
	v_add_lshl_u32 v48, v49, v48, 23
	v_or_b32_e32 v42, v42, v43
	v_not_b32_e32 v43, v49
	s_delay_alu instid0(VALU_DEP_3) | instskip(NEXT) | instid1(VALU_DEP_3)
	v_sub_nc_u32_e32 v4, v4, v48
	v_mul_f32_e32 v80, 0x3fc90fda, v42
	s_delay_alu instid0(VALU_DEP_3) | instskip(NEXT) | instid1(VALU_DEP_2)
	v_alignbit_b32 v2, v7, v2, v43
	v_fma_f32 v7, 0x3fc90fda, v42, -v80
	s_delay_alu instid0(VALU_DEP_2) | instskip(NEXT) | instid1(VALU_DEP_2)
	v_lshrrev_b32_e32 v2, 9, v2
	v_fmac_f32_e32 v7, 0x33a22168, v42
	s_delay_alu instid0(VALU_DEP_2) | instskip(NEXT) | instid1(VALU_DEP_1)
	v_or_b32_e32 v2, v4, v2
	v_fmac_f32_e32 v7, 0x3fc90fda, v2
	s_delay_alu instid0(VALU_DEP_1)
	v_add_f32_e32 v2, v80, v7
.LBB2_206:                              ;   in Loop: Header=BB2_34 Depth=2
	s_or_saveexec_b32 s10, s21
	v_mul_f32_e64 v4, 0x3f22f983, |v82|
	s_delay_alu instid0(VALU_DEP_1)
	v_rndne_f32_e32 v43, v4
	s_xor_b32 exec_lo, exec_lo, s10
; %bb.207:                              ;   in Loop: Header=BB2_34 Depth=2
	s_delay_alu instid0(VALU_DEP_1) | instskip(SKIP_1) | instid1(VALU_DEP_2)
	v_fma_f32 v2, 0xbfc90fda, v43, |v82|
	v_cvt_i32_f32_e32 v3, v43
	v_fmac_f32_e32 v2, 0xb3a22168, v43
	s_delay_alu instid0(VALU_DEP_1)
	v_fmac_f32_e32 v2, 0xa7c234c4, v43
; %bb.208:                              ;   in Loop: Header=BB2_34 Depth=2
	s_or_b32 exec_lo, exec_lo, s10
                                        ; implicit-def: $vgpr7
                                        ; implicit-def: $vgpr42
	s_and_saveexec_b32 s10, s12
	s_delay_alu instid0(SALU_CYCLE_1)
	s_xor_b32 s21, exec_lo, s10
	s_cbranch_execz .LBB2_210
; %bb.209:                              ;   in Loop: Header=BB2_34 Depth=2
	v_mul_u64_e32 v[80:81], s[34:35], v[28:29]
	v_mov_b32_e32 v5, v29
	v_cmp_lt_u32_e32 vcc_lo, 63, v6
	s_delay_alu instid0(VALU_DEP_3) | instskip(NEXT) | instid1(VALU_DEP_1)
	v_mov_b32_e32 v4, v81
	v_mad_nc_u64_u32 v[4:5], 0x3c439041, v28, v[4:5]
	s_delay_alu instid0(VALU_DEP_1) | instskip(SKIP_1) | instid1(VALU_DEP_2)
	v_dual_mov_b32 v43, v29 :: v_dual_mov_b32 v42, v5
	v_cndmask_b32_e64 v5, 0, 0xffffffc0, vcc_lo
	v_mad_nc_u64_u32 v[42:43], 0xdb629599, v28, v[42:43]
	v_mov_b32_e32 v49, v29
	s_delay_alu instid0(VALU_DEP_2) | instskip(NEXT) | instid1(VALU_DEP_1)
	v_dual_mov_b32 v48, v43 :: v_dual_add_nc_u32 v5, v5, v6
	v_mad_nc_u64_u32 v[48:49], 0xf534ddc0, v28, v[48:49]
	s_delay_alu instid0(VALU_DEP_1) | instskip(NEXT) | instid1(VALU_DEP_1)
	v_dual_mov_b32 v89, v29 :: v_dual_mov_b32 v88, v49
	v_mad_nc_u64_u32 v[88:89], 0xfc2757d1, v28, v[88:89]
	s_delay_alu instid0(VALU_DEP_1) | instskip(NEXT) | instid1(VALU_DEP_1)
	v_dual_mov_b32 v91, v29 :: v_dual_mov_b32 v90, v89
	v_mad_nc_u64_u32 v[6:7], 0x4e441529, v28, v[90:91]
	s_delay_alu instid0(VALU_DEP_1) | instskip(SKIP_1) | instid1(VALU_DEP_2)
	v_mov_b32_e32 v90, v7
	v_cmp_lt_u32_e64 s10, 31, v5
	v_mad_nc_u64_u32 v[90:91], 0xa2f9836e, v28, v[90:91]
	s_delay_alu instid0(VALU_DEP_2) | instskip(NEXT) | instid1(VALU_DEP_1)
	v_cndmask_b32_e64 v43, 0, 0xffffffe0, s10
	v_dual_cndmask_b32 v28, v6, v48 :: v_dual_add_nc_u32 v5, v43, v5
	s_delay_alu instid0(VALU_DEP_1) | instskip(NEXT) | instid1(VALU_DEP_4)
	v_cmp_lt_u32_e64 s11, 31, v5
	v_dual_cndmask_b32 v43, v90, v88 :: v_dual_cndmask_b32 v6, v91, v6
	v_cndmask_b32_e32 v4, v48, v4, vcc_lo
	s_delay_alu instid0(VALU_DEP_3) | instskip(NEXT) | instid1(VALU_DEP_3)
	v_cndmask_b32_e64 v7, 0, 0xffffffe0, s11
	v_dual_cndmask_b32 v49, v88, v42, vcc_lo :: v_dual_cndmask_b32 v6, v6, v43, s10
	s_delay_alu instid0(VALU_DEP_2) | instskip(NEXT) | instid1(VALU_DEP_2)
	v_add_nc_u32_e32 v5, v7, v5
	v_dual_cndmask_b32 v7, v43, v28, s10 :: v_dual_cndmask_b32 v28, v28, v49, s10
	s_delay_alu instid0(VALU_DEP_2) | instskip(NEXT) | instid1(VALU_DEP_2)
	v_dual_cndmask_b32 v48, v49, v4, s10 :: v_dual_sub_nc_u32 v43, 32, v5
	v_dual_cndmask_b32 v6, v6, v7, s11 :: v_dual_cndmask_b32 v7, v7, v28, s11
	v_cmp_eq_u32_e64 s12, 0, v5
	s_delay_alu instid0(VALU_DEP_3) | instskip(NEXT) | instid1(VALU_DEP_3)
	v_cndmask_b32_e64 v5, v28, v48, s11
	v_alignbit_b32 v28, v6, v7, v43
	s_delay_alu instid0(VALU_DEP_1) | instskip(NEXT) | instid1(VALU_DEP_3)
	v_cndmask_b32_e64 v6, v28, v6, s12
	v_alignbit_b32 v49, v7, v5, v43
	v_cndmask_b32_e32 v42, v42, v80, vcc_lo
	s_delay_alu instid0(VALU_DEP_3) | instskip(NEXT) | instid1(VALU_DEP_2)
	v_bfe_u32 v28, v6, 29, 1
	v_dual_cndmask_b32 v7, v49, v7, s12 :: v_dual_cndmask_b32 v4, v4, v42, s10
	s_delay_alu instid0(VALU_DEP_1) | instskip(NEXT) | instid1(VALU_DEP_2)
	v_alignbit_b32 v42, v6, v7, 30
	v_cndmask_b32_e64 v4, v48, v4, s11
	s_delay_alu instid0(VALU_DEP_4) | instskip(NEXT) | instid1(VALU_DEP_2)
	v_sub_nc_u32_e32 v48, 0, v28
	v_alignbit_b32 v43, v5, v4, v43
	s_delay_alu instid0(VALU_DEP_1) | instskip(NEXT) | instid1(VALU_DEP_1)
	v_dual_cndmask_b32 v5, v43, v5, s12 :: v_dual_bitop2_b32 v42, v42, v48 bitop3:0x14
	v_clz_i32_u32_e32 v43, v42
	s_delay_alu instid0(VALU_DEP_2) | instskip(NEXT) | instid1(VALU_DEP_2)
	v_alignbit_b32 v7, v7, v5, 30
	v_min_u32_e32 v43, 32, v43
	v_alignbit_b32 v4, v5, v4, 30
	s_delay_alu instid0(VALU_DEP_2) | instskip(NEXT) | instid1(VALU_DEP_2)
	v_dual_sub_nc_u32 v7, 31, v43 :: v_dual_bitop2_b32 v5, v7, v48 bitop3:0x14
	v_dual_lshrrev_b32 v48, 29, v6 :: v_dual_bitop2_b32 v4, v4, v48 bitop3:0x14
	v_lshlrev_b32_e32 v49, 23, v43
	s_delay_alu instid0(VALU_DEP_3) | instskip(NEXT) | instid1(VALU_DEP_3)
	v_alignbit_b32 v42, v42, v5, v7
	v_alignbit_b32 v4, v5, v4, v7
	s_delay_alu instid0(VALU_DEP_4) | instskip(NEXT) | instid1(VALU_DEP_2)
	v_lshlrev_b32_e32 v5, 31, v48
	v_alignbit_b32 v7, v42, v4, 9
	s_delay_alu instid0(VALU_DEP_2) | instskip(SKIP_1) | instid1(VALU_DEP_3)
	v_dual_lshrrev_b32 v42, 9, v42 :: v_dual_bitop2_b32 v48, 0.5, v5 bitop3:0x54
	v_or_b32_e32 v5, 0x33000000, v5
	v_clz_i32_u32_e32 v80, v7
	s_delay_alu instid0(VALU_DEP_3) | instskip(NEXT) | instid1(VALU_DEP_2)
	v_sub_nc_u32_e32 v48, v48, v49
	v_min_u32_e32 v49, 32, v80
	s_delay_alu instid0(VALU_DEP_1) | instskip(NEXT) | instid1(VALU_DEP_3)
	v_add_lshl_u32 v43, v49, v43, 23
	v_or_b32_e32 v42, v42, v48
	v_not_b32_e32 v48, v49
	s_delay_alu instid0(VALU_DEP_3) | instskip(NEXT) | instid1(VALU_DEP_2)
	v_sub_nc_u32_e32 v5, v5, v43
                                        ; implicit-def: $vgpr43
	v_alignbit_b32 v4, v7, v4, v48
	s_delay_alu instid0(VALU_DEP_1) | instskip(NEXT) | instid1(VALU_DEP_1)
	v_lshrrev_b32_e32 v4, 9, v4
	v_or_b32_e32 v4, v5, v4
	v_mul_f32_e32 v80, 0x3fc90fda, v42
	s_delay_alu instid0(VALU_DEP_1) | instskip(NEXT) | instid1(VALU_DEP_1)
	v_fma_f32 v7, 0x3fc90fda, v42, -v80
	v_fmac_f32_e32 v7, 0x33a22168, v42
	s_delay_alu instid0(VALU_DEP_1) | instskip(NEXT) | instid1(VALU_DEP_1)
	v_dual_fmac_f32 v7, 0x3fc90fda, v4 :: v_dual_lshrrev_b32 v4, 30, v6
	v_add_f32_e32 v42, v80, v7
	s_delay_alu instid0(VALU_DEP_2)
	v_add_nc_u32_e32 v7, v28, v4
	s_and_not1_saveexec_b32 s10, s21
	s_cbranch_execnz .LBB2_211
	s_branch .LBB2_212
.LBB2_210:                              ;   in Loop: Header=BB2_34 Depth=2
	s_and_not1_saveexec_b32 s10, s21
.LBB2_211:                              ;   in Loop: Header=BB2_34 Depth=2
	v_fma_f32 v42, 0xbfc90fda, v43, |v82|
	v_cvt_i32_f32_e32 v7, v43
	s_delay_alu instid0(VALU_DEP_2) | instskip(NEXT) | instid1(VALU_DEP_1)
	v_fmac_f32_e32 v42, 0xb3a22168, v43
	v_fmac_f32_e32 v42, 0xa7c234c4, v43
.LBB2_212:                              ;   in Loop: Header=BB2_34 Depth=2
	s_or_b32 exec_lo, exec_lo, s10
	v_mul_f32_e32 v4, v2, v2
	s_delay_alu instid0(VALU_DEP_1) | instskip(NEXT) | instid1(VALU_DEP_1)
	v_fmaak_f32 v5, s54, v4, 0x3c0881c4
	v_fmaak_f32 v5, v4, v5, 0xbe2aaa9d
	s_delay_alu instid0(VALU_DEP_1) | instskip(NEXT) | instid1(VALU_DEP_1)
	v_mul_f32_e32 v5, v4, v5
	v_dual_fmac_f32 v2, v2, v5 :: v_dual_fmaak_f32 v5, s56, v4, 0xbab64f3b
	s_delay_alu instid0(VALU_DEP_1) | instskip(NEXT) | instid1(VALU_DEP_1)
	v_fmaak_f32 v5, v4, v5, 0x3d2aabf7
	v_fmaak_f32 v5, v4, v5, 0xbf000004
	s_delay_alu instid0(VALU_DEP_1) | instskip(SKIP_1) | instid1(VALU_DEP_1)
	v_fma_f32 v4, v4, v5, 1.0
	v_dual_lshlrev_b32 v3, 30, v3 :: v_dual_bitop2_b32 v5, 1, v3 bitop3:0x40
	v_cmp_eq_u32_e32 vcc_lo, 0, v5
	s_delay_alu instid0(VALU_DEP_3) | instskip(SKIP_1) | instid1(VALU_DEP_2)
	v_dual_cndmask_b32 v2, -v2, v4, vcc_lo :: v_dual_bitop2_b32 v5, v83, v82 bitop3:0x14
	v_cmp_class_f32_e64 vcc_lo, v82, 0x1f8
	v_bitop3_b32 v2, v3, v2, 0x80000000 bitop3:0x6c
	s_delay_alu instid0(VALU_DEP_1) | instskip(NEXT) | instid1(VALU_DEP_1)
	v_cndmask_b32_e32 v2, 0x7fc00000, v2, vcc_lo
	v_mul_f32_e32 v4, v111, v2
	v_mul_f32_e32 v2, v42, v42
	s_delay_alu instid0(VALU_DEP_1) | instskip(NEXT) | instid1(VALU_DEP_1)
	v_fmaak_f32 v3, s54, v2, 0x3c0881c4
	v_fmaak_f32 v3, v2, v3, 0xbe2aaa9d
	s_delay_alu instid0(VALU_DEP_1) | instskip(NEXT) | instid1(VALU_DEP_1)
	v_mul_f32_e32 v3, v2, v3
	v_dual_fmac_f32 v42, v42, v3 :: v_dual_fmaak_f32 v3, s56, v2, 0xbab64f3b
	s_delay_alu instid0(VALU_DEP_1) | instskip(NEXT) | instid1(VALU_DEP_1)
	v_fmaak_f32 v3, v2, v3, 0x3d2aabf7
	v_fmaak_f32 v3, v2, v3, 0xbf000004
	s_delay_alu instid0(VALU_DEP_1) | instskip(SKIP_1) | instid1(VALU_DEP_1)
	v_fma_f32 v2, v2, v3, 1.0
	v_and_b32_e32 v3, 1, v7
	v_cmp_eq_u32_e64 s10, 0, v3
	s_delay_alu instid0(VALU_DEP_1) | instskip(NEXT) | instid1(VALU_DEP_1)
	v_dual_lshlrev_b32 v3, 30, v7 :: v_dual_cndmask_b32 v2, v2, v42, s10
	v_and_b32_e32 v3, 0x80000000, v3
	s_delay_alu instid0(VALU_DEP_1) | instskip(NEXT) | instid1(VALU_DEP_1)
	v_xor3_b32 v2, v5, v3, v2
	v_cndmask_b32_e32 v2, 0x7fc00000, v2, vcc_lo
	s_delay_alu instid0(VALU_DEP_1)
	v_mul_f32_e32 v3, v111, v2
.LBB2_213:                              ;   in Loop: Header=BB2_34 Depth=2
	s_or_b32 exec_lo, exec_lo, s18
.LBB2_214:                              ;   in Loop: Header=BB2_34 Depth=2
	s_delay_alu instid0(SALU_CYCLE_1)
	s_or_b32 exec_lo, exec_lo, s17
                                        ; implicit-def: $vgpr2
.LBB2_215:                              ;   in Loop: Header=BB2_34 Depth=2
	s_and_not1_saveexec_b32 s10, s16
	s_cbranch_execz .LBB2_225
; %bb.216:                              ;   in Loop: Header=BB2_34 Depth=2
	s_mov_b32 s11, exec_lo
                                        ; implicit-def: $vgpr3
                                        ; implicit-def: $vgpr4
	s_wait_loadcnt 0x0
	v_cmpx_lt_i32_e32 10, v2
	s_xor_b32 s11, exec_lo, s11
	s_cbranch_execz .LBB2_220
; %bb.217:                              ;   in Loop: Header=BB2_34 Depth=2
	s_mov_b32 s12, exec_lo
	v_cmpx_lt_i32_e32 11, v2
	s_xor_b32 s12, exec_lo, s12
	s_delay_alu instid0(SALU_CYCLE_1)
	s_or_saveexec_b32 s12, s12
	v_dual_mov_b32 v3, v63 :: v_dual_mov_b32 v4, v62
	s_xor_b32 exec_lo, exec_lo, s12
; %bb.218:                              ;   in Loop: Header=BB2_34 Depth=2
	v_dual_mov_b32 v3, v65 :: v_dual_mov_b32 v4, v64
; %bb.219:                              ;   in Loop: Header=BB2_34 Depth=2
	s_or_b32 exec_lo, exec_lo, s12
                                        ; implicit-def: $vgpr2
.LBB2_220:                              ;   in Loop: Header=BB2_34 Depth=2
	s_and_not1_saveexec_b32 s11, s11
	s_cbranch_execz .LBB2_224
; %bb.221:                              ;   in Loop: Header=BB2_34 Depth=2
	s_mov_b32 s12, exec_lo
	v_cmpx_lt_i32_e32 9, v2
	s_xor_b32 s12, exec_lo, s12
	s_delay_alu instid0(SALU_CYCLE_1)
	s_or_saveexec_b32 s12, s12
	v_dual_mov_b32 v3, v119 :: v_dual_mov_b32 v4, v16
	s_xor_b32 exec_lo, exec_lo, s12
; %bb.222:                              ;   in Loop: Header=BB2_34 Depth=2
	v_dual_mov_b32 v3, v67 :: v_dual_mov_b32 v4, v66
; %bb.223:                              ;   in Loop: Header=BB2_34 Depth=2
	s_or_b32 exec_lo, exec_lo, s12
.LBB2_224:                              ;   in Loop: Header=BB2_34 Depth=2
	s_delay_alu instid0(SALU_CYCLE_1)
	s_or_b32 exec_lo, exec_lo, s11
.LBB2_225:                              ;   in Loop: Header=BB2_34 Depth=2
	s_delay_alu instid0(SALU_CYCLE_1)
	s_or_b32 exec_lo, exec_lo, s10
                                        ; implicit-def: $vgpr2
                                        ; implicit-def: $vgpr81
.LBB2_226:                              ;   in Loop: Header=BB2_34 Depth=2
	s_and_not1_saveexec_b32 s10, s15
	s_cbranch_execz .LBB2_31
; %bb.227:                              ;   in Loop: Header=BB2_34 Depth=2
	s_mov_b32 s11, exec_lo
                                        ; implicit-def: $vgpr3
                                        ; implicit-def: $vgpr4
	s_wait_loadcnt 0x0
	v_cmpx_lt_i32_e32 3, v2
	s_xor_b32 s11, exec_lo, s11
	s_cbranch_execz .LBB2_241
; %bb.228:                              ;   in Loop: Header=BB2_34 Depth=2
	s_mov_b32 s12, exec_lo
                                        ; implicit-def: $vgpr3
                                        ; implicit-def: $vgpr4
	v_cmpx_lt_i32_e32 5, v2
	s_xor_b32 s12, exec_lo, s12
	s_cbranch_execz .LBB2_236
; %bb.229:                              ;   in Loop: Header=BB2_34 Depth=2
	s_mov_b32 s15, exec_lo
                                        ; implicit-def: $vgpr3
                                        ; implicit-def: $vgpr4
	v_cmpx_lt_i32_e32 6, v2
	s_xor_b32 s15, exec_lo, s15
	s_cbranch_execz .LBB2_233
; %bb.230:                              ;   in Loop: Header=BB2_34 Depth=2
	s_mov_b32 s16, exec_lo
	v_cmpx_lt_i32_e32 7, v2
	s_xor_b32 s16, exec_lo, s16
	s_delay_alu instid0(SALU_CYCLE_1)
	s_or_saveexec_b32 s16, s16
	v_dual_mov_b32 v3, v69 :: v_dual_mov_b32 v4, v68
	s_xor_b32 exec_lo, exec_lo, s16
; %bb.231:                              ;   in Loop: Header=BB2_34 Depth=2
	v_dual_mov_b32 v3, v71 :: v_dual_mov_b32 v4, v70
; %bb.232:                              ;   in Loop: Header=BB2_34 Depth=2
	s_or_b32 exec_lo, exec_lo, s16
.LBB2_233:                              ;   in Loop: Header=BB2_34 Depth=2
	s_and_not1_saveexec_b32 s15, s15
; %bb.234:                              ;   in Loop: Header=BB2_34 Depth=2
	v_dual_mov_b32 v3, v73 :: v_dual_mov_b32 v4, v72
; %bb.235:                              ;   in Loop: Header=BB2_34 Depth=2
	s_or_b32 exec_lo, exec_lo, s15
                                        ; implicit-def: $vgpr2
.LBB2_236:                              ;   in Loop: Header=BB2_34 Depth=2
	s_and_not1_saveexec_b32 s12, s12
	s_cbranch_execz .LBB2_240
; %bb.237:                              ;   in Loop: Header=BB2_34 Depth=2
	s_mov_b32 s15, exec_lo
	v_cmpx_lt_i32_e32 4, v2
	s_xor_b32 s15, exec_lo, s15
	s_delay_alu instid0(SALU_CYCLE_1)
	s_or_saveexec_b32 s15, s15
	v_dual_mov_b32 v3, v113 :: v_dual_mov_b32 v4, v10
	s_xor_b32 exec_lo, exec_lo, s15
; %bb.238:                              ;   in Loop: Header=BB2_34 Depth=2
	v_dual_mov_b32 v3, v53 :: v_dual_mov_b32 v4, v52
; %bb.239:                              ;   in Loop: Header=BB2_34 Depth=2
	s_or_b32 exec_lo, exec_lo, s15
.LBB2_240:                              ;   in Loop: Header=BB2_34 Depth=2
	s_delay_alu instid0(SALU_CYCLE_1)
	s_or_b32 exec_lo, exec_lo, s12
                                        ; implicit-def: $vgpr2
                                        ; implicit-def: $vgpr81
.LBB2_241:                              ;   in Loop: Header=BB2_34 Depth=2
	s_and_not1_saveexec_b32 s11, s11
	s_cbranch_execz .LBB2_30
; %bb.242:                              ;   in Loop: Header=BB2_34 Depth=2
	s_mov_b32 s12, exec_lo
                                        ; implicit-def: $vgpr3
                                        ; implicit-def: $vgpr4
	v_cmpx_lt_i32_e32 1, v2
	s_xor_b32 s12, exec_lo, s12
	s_cbranch_execz .LBB2_246
; %bb.243:                              ;   in Loop: Header=BB2_34 Depth=2
	s_mov_b32 s15, exec_lo
	v_cmpx_lt_i32_e32 2, v2
	s_xor_b32 s15, exec_lo, s15
	s_delay_alu instid0(SALU_CYCLE_1)
	s_or_saveexec_b32 s15, s15
	v_dual_mov_b32 v3, v75 :: v_dual_mov_b32 v4, v33
	s_xor_b32 exec_lo, exec_lo, s15
; %bb.244:                              ;   in Loop: Header=BB2_34 Depth=2
	v_dual_mov_b32 v3, v114 :: v_dual_mov_b32 v4, v50
; %bb.245:                              ;   in Loop: Header=BB2_34 Depth=2
	s_or_b32 exec_lo, exec_lo, s15
                                        ; implicit-def: $vgpr81
                                        ; implicit-def: $vgpr2
.LBB2_246:                              ;   in Loop: Header=BB2_34 Depth=2
	s_and_not1_saveexec_b32 s12, s12
	s_cbranch_execz .LBB2_29
; %bb.247:                              ;   in Loop: Header=BB2_34 Depth=2
	s_mov_b32 s15, exec_lo
	v_cmpx_lt_i32_e32 0, v2
	s_xor_b32 s15, exec_lo, s15
; %bb.248:                              ;   in Loop: Header=BB2_34 Depth=2
                                        ; implicit-def: $vgpr81
                                        ; implicit-def: $vgpr2
; %bb.249:                              ;   in Loop: Header=BB2_34 Depth=2
	s_delay_alu instid0(SALU_CYCLE_1)
	s_or_saveexec_b32 s15, s15
	v_dual_mov_b32 v3, v115 :: v_dual_mov_b32 v4, v116
	s_xor_b32 exec_lo, exec_lo, s15
	s_cbranch_execz .LBB2_28
; %bb.250:                              ;   in Loop: Header=BB2_34 Depth=2
	s_mov_b32 s16, exec_lo
	v_cmpx_eq_u32_e32 0, v2
	s_cbranch_execz .LBB2_27
; %bb.251:                              ;   in Loop: Header=BB2_34 Depth=2
	v_dual_mov_b32 v81, v39 :: v_dual_mov_b32 v80, v38
	s_branch .LBB2_27
.LBB2_252:
	s_sendmsg sendmsg(MSG_DEALLOC_VGPRS)
	s_endpgm
	.section	.rodata,"a",@progbits
	.p2align	6, 0x0
	.amdhsa_kernel _Z22kernel_generate_pointsP15HIP_vector_typeIfLj3EEPS_IsLj2EEPsPKtiPKf14ConstMemParams
		.amdhsa_group_segment_fixed_size 0
		.amdhsa_private_segment_fixed_size 104
		.amdhsa_kernarg_size 2232
		.amdhsa_user_sgpr_count 2
		.amdhsa_user_sgpr_dispatch_ptr 0
		.amdhsa_user_sgpr_queue_ptr 0
		.amdhsa_user_sgpr_kernarg_segment_ptr 1
		.amdhsa_user_sgpr_dispatch_id 0
		.amdhsa_user_sgpr_kernarg_preload_length 0
		.amdhsa_user_sgpr_kernarg_preload_offset 0
		.amdhsa_user_sgpr_private_segment_size 0
		.amdhsa_wavefront_size32 1
		.amdhsa_uses_dynamic_stack 0
		.amdhsa_enable_private_segment 1
		.amdhsa_system_sgpr_workgroup_id_x 1
		.amdhsa_system_sgpr_workgroup_id_y 0
		.amdhsa_system_sgpr_workgroup_id_z 0
		.amdhsa_system_sgpr_workgroup_info 0
		.amdhsa_system_vgpr_workitem_id 0
		.amdhsa_next_free_vgpr 128
		.amdhsa_next_free_sgpr 72
		.amdhsa_named_barrier_count 0
		.amdhsa_reserve_vcc 1
		.amdhsa_float_round_mode_32 0
		.amdhsa_float_round_mode_16_64 0
		.amdhsa_float_denorm_mode_32 3
		.amdhsa_float_denorm_mode_16_64 3
		.amdhsa_fp16_overflow 0
		.amdhsa_memory_ordered 1
		.amdhsa_forward_progress 1
		.amdhsa_inst_pref_size 255
		.amdhsa_round_robin_scheduling 0
		.amdhsa_exception_fp_ieee_invalid_op 0
		.amdhsa_exception_fp_denorm_src 0
		.amdhsa_exception_fp_ieee_div_zero 0
		.amdhsa_exception_fp_ieee_overflow 0
		.amdhsa_exception_fp_ieee_underflow 0
		.amdhsa_exception_fp_ieee_inexact 0
		.amdhsa_exception_int_div_zero 0
	.end_amdhsa_kernel
	.text
.Lfunc_end2:
	.size	_Z22kernel_generate_pointsP15HIP_vector_typeIfLj3EEPS_IsLj2EEPsPKtiPKf14ConstMemParams, .Lfunc_end2-_Z22kernel_generate_pointsP15HIP_vector_typeIfLj3EEPS_IsLj2EEPsPKtiPKf14ConstMemParams
                                        ; -- End function
	.set _Z22kernel_generate_pointsP15HIP_vector_typeIfLj3EEPS_IsLj2EEPsPKtiPKf14ConstMemParams.num_vgpr, 128
	.set _Z22kernel_generate_pointsP15HIP_vector_typeIfLj3EEPS_IsLj2EEPsPKtiPKf14ConstMemParams.num_agpr, 0
	.set _Z22kernel_generate_pointsP15HIP_vector_typeIfLj3EEPS_IsLj2EEPsPKtiPKf14ConstMemParams.numbered_sgpr, 72
	.set _Z22kernel_generate_pointsP15HIP_vector_typeIfLj3EEPS_IsLj2EEPsPKtiPKf14ConstMemParams.num_named_barrier, 0
	.set _Z22kernel_generate_pointsP15HIP_vector_typeIfLj3EEPS_IsLj2EEPsPKtiPKf14ConstMemParams.private_seg_size, 104
	.set _Z22kernel_generate_pointsP15HIP_vector_typeIfLj3EEPS_IsLj2EEPsPKtiPKf14ConstMemParams.uses_vcc, 1
	.set _Z22kernel_generate_pointsP15HIP_vector_typeIfLj3EEPS_IsLj2EEPsPKtiPKf14ConstMemParams.uses_flat_scratch, 1
	.set _Z22kernel_generate_pointsP15HIP_vector_typeIfLj3EEPS_IsLj2EEPsPKtiPKf14ConstMemParams.has_dyn_sized_stack, 0
	.set _Z22kernel_generate_pointsP15HIP_vector_typeIfLj3EEPS_IsLj2EEPsPKtiPKf14ConstMemParams.has_recursion, 0
	.set _Z22kernel_generate_pointsP15HIP_vector_typeIfLj3EEPS_IsLj2EEPsPKtiPKf14ConstMemParams.has_indirect_call, 0
	.section	.AMDGPU.csdata,"",@progbits
; Kernel info:
; codeLenInByte = 45372
; TotalNumSgprs: 74
; NumVgprs: 128
; ScratchSize: 104
; MemoryBound: 0
; FloatMode: 240
; IeeeMode: 1
; LDSByteSize: 0 bytes/workgroup (compile time only)
; SGPRBlocks: 0
; VGPRBlocks: 7
; NumSGPRsForWavesPerEU: 74
; NumVGPRsForWavesPerEU: 128
; NamedBarCnt: 0
; Occupancy: 8
; WaveLimiterHint : 0
; COMPUTE_PGM_RSRC2:SCRATCH_EN: 1
; COMPUTE_PGM_RSRC2:USER_SGPR: 2
; COMPUTE_PGM_RSRC2:TRAP_HANDLER: 0
; COMPUTE_PGM_RSRC2:TGID_X_EN: 1
; COMPUTE_PGM_RSRC2:TGID_Y_EN: 0
; COMPUTE_PGM_RSRC2:TGID_Z_EN: 0
; COMPUTE_PGM_RSRC2:TIDIG_COMP_CNT: 0
	.text
	.p2alignl 7, 3214868480
	.fill 96, 4, 3214868480
	.section	.AMDGPU.gpr_maximums,"",@progbits
	.set amdgpu.max_num_vgpr, 0
	.set amdgpu.max_num_agpr, 0
	.set amdgpu.max_num_sgpr, 0
	.text
	.type	__hip_cuid_7d3b841a7a8e4058,@object ; @__hip_cuid_7d3b841a7a8e4058
	.section	.bss,"aw",@nobits
	.globl	__hip_cuid_7d3b841a7a8e4058
__hip_cuid_7d3b841a7a8e4058:
	.byte	0                               ; 0x0
	.size	__hip_cuid_7d3b841a7a8e4058, 1

	.ident	"AMD clang version 22.0.0git (https://github.com/RadeonOpenCompute/llvm-project roc-7.2.4 26084 f58b06dce1f9c15707c5f808fd002e18c2accf7e)"
	.section	".note.GNU-stack","",@progbits
	.addrsig
	.addrsig_sym __hip_cuid_7d3b841a7a8e4058
	.amdgpu_metadata
---
amdhsa.kernels:
  - .args:
      - .address_space:  global
        .offset:         0
        .size:           8
        .value_kind:     global_buffer
      - .address_space:  global
        .offset:         8
        .size:           8
        .value_kind:     global_buffer
      - .address_space:  global
        .offset:         16
        .size:           8
        .value_kind:     global_buffer
      - .offset:         24
        .size:           4
        .value_kind:     by_value
      - .address_space:  global
        .offset:         32
        .size:           8
        .value_kind:     global_buffer
      - .address_space:  global
        .offset:         40
        .size:           8
        .value_kind:     global_buffer
      - .offset:         48
        .size:           1928
        .value_kind:     by_value
      - .offset:         1976
        .size:           4
        .value_kind:     hidden_block_count_x
      - .offset:         1980
        .size:           4
        .value_kind:     hidden_block_count_y
      - .offset:         1984
        .size:           4
        .value_kind:     hidden_block_count_z
      - .offset:         1988
        .size:           2
        .value_kind:     hidden_group_size_x
      - .offset:         1990
        .size:           2
        .value_kind:     hidden_group_size_y
      - .offset:         1992
        .size:           2
        .value_kind:     hidden_group_size_z
      - .offset:         1994
        .size:           2
        .value_kind:     hidden_remainder_x
      - .offset:         1996
        .size:           2
        .value_kind:     hidden_remainder_y
      - .offset:         1998
        .size:           2
        .value_kind:     hidden_remainder_z
      - .offset:         2016
        .size:           8
        .value_kind:     hidden_global_offset_x
      - .offset:         2024
        .size:           8
        .value_kind:     hidden_global_offset_y
      - .offset:         2032
        .size:           8
        .value_kind:     hidden_global_offset_z
      - .offset:         2040
        .size:           2
        .value_kind:     hidden_grid_dims
    .group_segment_fixed_size: 0
    .kernarg_segment_align: 8
    .kernarg_segment_size: 2232
    .language:       OpenCL C
    .language_version:
      - 2
      - 0
    .max_flat_workgroup_size: 1024
    .name:           _Z17kernel_initializeP15HIP_vector_typeIsLj2EEPsPKtiPS_IfLj2EEPKf14ConstMemParams
    .private_segment_fixed_size: 40
    .sgpr_count:     62
    .sgpr_spill_count: 0
    .symbol:         _Z17kernel_initializeP15HIP_vector_typeIsLj2EEPsPKtiPS_IfLj2EEPKf14ConstMemParams.kd
    .uniform_work_group_size: 1
    .uses_dynamic_stack: false
    .vgpr_count:     128
    .vgpr_spill_count: 9
    .wavefront_size: 32
  - .args:
      - .address_space:  global
        .offset:         0
        .size:           8
        .value_kind:     global_buffer
      - .address_space:  global
        .offset:         8
        .size:           8
        .value_kind:     global_buffer
      - .address_space:  global
        .offset:         16
        .size:           8
        .value_kind:     global_buffer
      - .offset:         24
        .size:           4
        .value_kind:     by_value
      - .address_space:  global
        .offset:         32
        .size:           8
        .value_kind:     global_buffer
      - .offset:         40
        .size:           1928
        .value_kind:     by_value
      - .offset:         1968
        .size:           4
        .value_kind:     hidden_block_count_x
      - .offset:         1972
        .size:           4
        .value_kind:     hidden_block_count_y
      - .offset:         1976
        .size:           4
        .value_kind:     hidden_block_count_z
      - .offset:         1980
        .size:           2
        .value_kind:     hidden_group_size_x
      - .offset:         1982
        .size:           2
        .value_kind:     hidden_group_size_y
      - .offset:         1984
        .size:           2
        .value_kind:     hidden_group_size_z
      - .offset:         1986
        .size:           2
        .value_kind:     hidden_remainder_x
      - .offset:         1988
        .size:           2
        .value_kind:     hidden_remainder_y
      - .offset:         1990
        .size:           2
        .value_kind:     hidden_remainder_z
      - .offset:         2008
        .size:           8
        .value_kind:     hidden_global_offset_x
      - .offset:         2016
        .size:           8
        .value_kind:     hidden_global_offset_y
      - .offset:         2024
        .size:           8
        .value_kind:     hidden_global_offset_z
      - .offset:         2032
        .size:           2
        .value_kind:     hidden_grid_dims
    .group_segment_fixed_size: 0
    .kernarg_segment_align: 8
    .kernarg_segment_size: 2224
    .language:       OpenCL C
    .language_version:
      - 2
      - 0
    .max_flat_workgroup_size: 1024
    .name:           _Z14kernel_iterateP15HIP_vector_typeIsLj2EEPsPKtiPKf14ConstMemParams
    .private_segment_fixed_size: 64
    .sgpr_count:     58
    .sgpr_spill_count: 0
    .symbol:         _Z14kernel_iterateP15HIP_vector_typeIsLj2EEPsPKtiPKf14ConstMemParams.kd
    .uniform_work_group_size: 1
    .uses_dynamic_stack: false
    .vgpr_count:     128
    .vgpr_spill_count: 15
    .wavefront_size: 32
  - .args:
      - .address_space:  global
        .offset:         0
        .size:           8
        .value_kind:     global_buffer
      - .address_space:  global
        .offset:         8
        .size:           8
        .value_kind:     global_buffer
      - .address_space:  global
        .offset:         16
        .size:           8
        .value_kind:     global_buffer
      - .address_space:  global
        .offset:         24
        .size:           8
        .value_kind:     global_buffer
      - .offset:         32
        .size:           4
        .value_kind:     by_value
      - .address_space:  global
        .offset:         40
        .size:           8
        .value_kind:     global_buffer
      - .offset:         48
        .size:           1928
        .value_kind:     by_value
      - .offset:         1976
        .size:           4
        .value_kind:     hidden_block_count_x
      - .offset:         1980
        .size:           4
        .value_kind:     hidden_block_count_y
      - .offset:         1984
        .size:           4
        .value_kind:     hidden_block_count_z
      - .offset:         1988
        .size:           2
        .value_kind:     hidden_group_size_x
      - .offset:         1990
        .size:           2
        .value_kind:     hidden_group_size_y
      - .offset:         1992
        .size:           2
        .value_kind:     hidden_group_size_z
      - .offset:         1994
        .size:           2
        .value_kind:     hidden_remainder_x
      - .offset:         1996
        .size:           2
        .value_kind:     hidden_remainder_y
      - .offset:         1998
        .size:           2
        .value_kind:     hidden_remainder_z
      - .offset:         2016
        .size:           8
        .value_kind:     hidden_global_offset_x
      - .offset:         2024
        .size:           8
        .value_kind:     hidden_global_offset_y
      - .offset:         2032
        .size:           8
        .value_kind:     hidden_global_offset_z
      - .offset:         2040
        .size:           2
        .value_kind:     hidden_grid_dims
    .group_segment_fixed_size: 0
    .kernarg_segment_align: 8
    .kernarg_segment_size: 2232
    .language:       OpenCL C
    .language_version:
      - 2
      - 0
    .max_flat_workgroup_size: 1024
    .name:           _Z22kernel_generate_pointsP15HIP_vector_typeIfLj3EEPS_IsLj2EEPsPKtiPKf14ConstMemParams
    .private_segment_fixed_size: 104
    .sgpr_count:     74
    .sgpr_spill_count: 0
    .symbol:         _Z22kernel_generate_pointsP15HIP_vector_typeIfLj3EEPS_IsLj2EEPsPKtiPKf14ConstMemParams.kd
    .uniform_work_group_size: 1
    .uses_dynamic_stack: false
    .vgpr_count:     128
    .vgpr_spill_count: 25
    .wavefront_size: 32
amdhsa.target:   amdgcn-amd-amdhsa--gfx1250
amdhsa.version:
  - 1
  - 2
...

	.end_amdgpu_metadata
